;; amdgpu-corpus repo=ROCm/rocBLAS kind=compiled arch=gfx1100 opt=O3
	.text
	.amdgcn_target "amdgcn-amd-amdhsa--gfx1100"
	.amdhsa_code_object_version 6
	.section	.text._ZL19rocblas_copy_kernelIlLi256EPfS0_EviT1_lT_lT2_lS2_li,"axG",@progbits,_ZL19rocblas_copy_kernelIlLi256EPfS0_EviT1_lT_lT2_lS2_li,comdat
	.globl	_ZL19rocblas_copy_kernelIlLi256EPfS0_EviT1_lT_lT2_lS2_li ; -- Begin function _ZL19rocblas_copy_kernelIlLi256EPfS0_EviT1_lT_lT2_lS2_li
	.p2align	8
	.type	_ZL19rocblas_copy_kernelIlLi256EPfS0_EviT1_lT_lT2_lS2_li,@function
_ZL19rocblas_copy_kernelIlLi256EPfS0_EviT1_lT_lT2_lS2_li: ; @_ZL19rocblas_copy_kernelIlLi256EPfS0_EviT1_lT_lT2_lS2_li
; %bb.0:
	s_load_b32 s2, s[0:1], 0x0
	v_lshl_or_b32 v0, s14, 8, v0
	v_mov_b32_e32 v1, 0
	s_waitcnt lgkmcnt(0)
	s_ashr_i32 s3, s2, 31
	s_delay_alu instid0(VALU_DEP_1) | instid1(SALU_CYCLE_1)
	v_cmp_gt_i64_e32 vcc_lo, s[2:3], v[0:1]
	s_and_saveexec_b32 s2, vcc_lo
	s_cbranch_execz .LBB0_2
; %bb.1:
	s_load_b512 s[16:31], s[0:1], 0x8
	s_waitcnt lgkmcnt(0)
	v_mad_u64_u32 v[1:2], null, v0, s20, 0
	s_mul_i32 s1, s15, s31
	s_mul_hi_u32 s2, s15, s30
	s_mul_i32 s0, s15, s30
	s_add_i32 s1, s2, s1
	s_mul_i32 s3, s15, s23
	s_lshl_b64 s[0:1], s[0:1], 2
	s_delay_alu instid0(VALU_DEP_1)
	v_mad_u64_u32 v[3:4], null, v0, s21, v[2:3]
	s_add_u32 s5, s24, s0
	s_addc_u32 s6, s25, s1
	s_lshl_b64 s[0:1], s[26:27], 2
	s_mul_hi_u32 s4, s15, s22
	s_add_u32 s5, s5, s0
	s_mul_i32 s2, s15, s22
	s_delay_alu instid0(VALU_DEP_1) | instskip(SKIP_2) | instid1(SALU_CYCLE_1)
	v_mov_b32_e32 v2, v3
	s_addc_u32 s6, s6, s1
	s_add_i32 s3, s4, s3
	s_lshl_b64 s[0:1], s[2:3], 2
	s_delay_alu instid0(VALU_DEP_1) | instskip(SKIP_3) | instid1(SALU_CYCLE_1)
	v_lshlrev_b64 v[1:2], 2, v[1:2]
	s_add_u32 s2, s16, s0
	s_addc_u32 s3, s17, s1
	s_lshl_b64 s[0:1], s[18:19], 2
	s_add_u32 s0, s2, s0
	s_addc_u32 s1, s3, s1
	v_add_co_u32 v1, vcc_lo, s0, v1
	v_add_co_ci_u32_e32 v2, vcc_lo, s1, v2, vcc_lo
	global_load_b32 v5, v[1:2], off
	v_mad_u64_u32 v[1:2], null, v0, s28, 0
	s_delay_alu instid0(VALU_DEP_1) | instskip(NEXT) | instid1(VALU_DEP_1)
	v_mad_u64_u32 v[3:4], null, v0, s29, v[2:3]
	v_mov_b32_e32 v2, v3
	s_delay_alu instid0(VALU_DEP_1) | instskip(NEXT) | instid1(VALU_DEP_1)
	v_lshlrev_b64 v[0:1], 2, v[1:2]
	v_add_co_u32 v0, vcc_lo, s5, v0
	s_delay_alu instid0(VALU_DEP_2)
	v_add_co_ci_u32_e32 v1, vcc_lo, s6, v1, vcc_lo
	s_waitcnt vmcnt(0)
	global_store_b32 v[0:1], v5, off
.LBB0_2:
	s_nop 0
	s_sendmsg sendmsg(MSG_DEALLOC_VGPRS)
	s_endpgm
	.section	.rodata,"a",@progbits
	.p2align	6, 0x0
	.amdhsa_kernel _ZL19rocblas_copy_kernelIlLi256EPfS0_EviT1_lT_lT2_lS2_li
		.amdhsa_group_segment_fixed_size 0
		.amdhsa_private_segment_fixed_size 0
		.amdhsa_kernarg_size 76
		.amdhsa_user_sgpr_count 14
		.amdhsa_user_sgpr_dispatch_ptr 0
		.amdhsa_user_sgpr_queue_ptr 0
		.amdhsa_user_sgpr_kernarg_segment_ptr 1
		.amdhsa_user_sgpr_dispatch_id 0
		.amdhsa_user_sgpr_private_segment_size 0
		.amdhsa_wavefront_size32 1
		.amdhsa_uses_dynamic_stack 0
		.amdhsa_enable_private_segment 0
		.amdhsa_system_sgpr_workgroup_id_x 1
		.amdhsa_system_sgpr_workgroup_id_y 0
		.amdhsa_system_sgpr_workgroup_id_z 1
		.amdhsa_system_sgpr_workgroup_info 0
		.amdhsa_system_vgpr_workitem_id 0
		.amdhsa_next_free_vgpr 6
		.amdhsa_next_free_sgpr 32
		.amdhsa_reserve_vcc 1
		.amdhsa_float_round_mode_32 0
		.amdhsa_float_round_mode_16_64 0
		.amdhsa_float_denorm_mode_32 3
		.amdhsa_float_denorm_mode_16_64 3
		.amdhsa_dx10_clamp 1
		.amdhsa_ieee_mode 1
		.amdhsa_fp16_overflow 0
		.amdhsa_workgroup_processor_mode 1
		.amdhsa_memory_ordered 1
		.amdhsa_forward_progress 0
		.amdhsa_shared_vgpr_count 0
		.amdhsa_exception_fp_ieee_invalid_op 0
		.amdhsa_exception_fp_denorm_src 0
		.amdhsa_exception_fp_ieee_div_zero 0
		.amdhsa_exception_fp_ieee_overflow 0
		.amdhsa_exception_fp_ieee_underflow 0
		.amdhsa_exception_fp_ieee_inexact 0
		.amdhsa_exception_int_div_zero 0
	.end_amdhsa_kernel
	.section	.text._ZL19rocblas_copy_kernelIlLi256EPfS0_EviT1_lT_lT2_lS2_li,"axG",@progbits,_ZL19rocblas_copy_kernelIlLi256EPfS0_EviT1_lT_lT2_lS2_li,comdat
.Lfunc_end0:
	.size	_ZL19rocblas_copy_kernelIlLi256EPfS0_EviT1_lT_lT2_lS2_li, .Lfunc_end0-_ZL19rocblas_copy_kernelIlLi256EPfS0_EviT1_lT_lT2_lS2_li
                                        ; -- End function
	.section	.AMDGPU.csdata,"",@progbits
; Kernel info:
; codeLenInByte = 272
; NumSgprs: 34
; NumVgprs: 6
; ScratchSize: 0
; MemoryBound: 0
; FloatMode: 240
; IeeeMode: 1
; LDSByteSize: 0 bytes/workgroup (compile time only)
; SGPRBlocks: 4
; VGPRBlocks: 0
; NumSGPRsForWavesPerEU: 34
; NumVGPRsForWavesPerEU: 6
; Occupancy: 16
; WaveLimiterHint : 0
; COMPUTE_PGM_RSRC2:SCRATCH_EN: 0
; COMPUTE_PGM_RSRC2:USER_SGPR: 14
; COMPUTE_PGM_RSRC2:TRAP_HANDLER: 0
; COMPUTE_PGM_RSRC2:TGID_X_EN: 1
; COMPUTE_PGM_RSRC2:TGID_Y_EN: 0
; COMPUTE_PGM_RSRC2:TGID_Z_EN: 1
; COMPUTE_PGM_RSRC2:TIDIG_COMP_CNT: 0
	.section	.text._ZL22rocblas_scopy_2_kernelILi256EPfS0_EviT0_llT1_lli,"axG",@progbits,_ZL22rocblas_scopy_2_kernelILi256EPfS0_EviT0_llT1_lli,comdat
	.globl	_ZL22rocblas_scopy_2_kernelILi256EPfS0_EviT0_llT1_lli ; -- Begin function _ZL22rocblas_scopy_2_kernelILi256EPfS0_EviT0_llT1_lli
	.p2align	8
	.type	_ZL22rocblas_scopy_2_kernelILi256EPfS0_EviT0_llT1_lli,@function
_ZL22rocblas_scopy_2_kernelILi256EPfS0_EviT0_llT1_lli: ; @_ZL22rocblas_scopy_2_kernelILi256EPfS0_EviT0_llT1_lli
; %bb.0:
	s_clause 0x4
	s_load_b128 s[4:7], s[0:1], 0x10
	s_load_b128 s[8:11], s[0:1], 0x28
	s_load_b64 s[12:13], s[0:1], 0x8
	s_load_b64 s[16:17], s[0:1], 0x20
	s_load_b32 s2, s[0:1], 0x0
	v_dual_mov_b32 v3, 0 :: v_dual_lshlrev_b32 v0, 1, v0
	s_delay_alu instid0(VALU_DEP_1) | instskip(NEXT) | instid1(VALU_DEP_1)
	v_lshl_or_b32 v2, s14, 9, v0
	v_lshlrev_b64 v[0:1], 2, v[2:3]
	s_waitcnt lgkmcnt(0)
	s_mul_i32 s1, s15, s7
	s_mul_hi_u32 s3, s15, s6
	s_mul_i32 s0, s15, s6
	s_add_i32 s1, s3, s1
	s_mul_i32 s7, s15, s11
	s_lshl_b64 s[0:1], s[0:1], 2
	s_mul_hi_u32 s11, s15, s10
	s_add_u32 s3, s12, s0
	s_addc_u32 s12, s13, s1
	s_lshl_b64 s[0:1], s[4:5], 2
	s_mul_i32 s6, s15, s10
	s_add_u32 s3, s3, s0
	s_addc_u32 s4, s12, s1
	s_add_i32 s7, s11, s7
	s_delay_alu instid0(SALU_CYCLE_1) | instskip(SKIP_4) | instid1(SALU_CYCLE_1)
	s_lshl_b64 s[0:1], s[6:7], 2
	s_mov_b32 s7, exec_lo
	s_add_u32 s5, s16, s0
	s_addc_u32 s6, s17, s1
	s_lshl_b64 s[0:1], s[8:9], 2
	s_add_u32 s5, s5, s0
	s_addc_u32 s6, s6, s1
	s_add_i32 s0, s2, -1
	s_delay_alu instid0(SALU_CYCLE_1) | instskip(NEXT) | instid1(SALU_CYCLE_1)
	s_ashr_i32 s1, s0, 31
	v_cmpx_gt_i64_e64 s[0:1], v[2:3]
	s_cbranch_execz .LBB1_2
; %bb.1:
	v_add_co_u32 v4, vcc_lo, s3, v0
	v_add_co_ci_u32_e32 v5, vcc_lo, s4, v1, vcc_lo
	v_add_co_u32 v6, vcc_lo, s5, v0
	v_add_co_ci_u32_e32 v7, vcc_lo, s6, v1, vcc_lo
	global_load_b64 v[4:5], v[4:5], off
	s_waitcnt vmcnt(0)
	global_store_b64 v[6:7], v[4:5], off
.LBB1_2:
	s_or_b32 exec_lo, exec_lo, s7
	v_cmp_eq_u64_e32 vcc_lo, s[0:1], v[2:3]
	s_bitcmp1_b32 s2, 0
	s_cselect_b32 s0, -1, 0
	s_delay_alu instid0(SALU_CYCLE_1) | instskip(NEXT) | instid1(SALU_CYCLE_1)
	s_and_b32 s0, s0, vcc_lo
	s_and_saveexec_b32 s1, s0
	s_cbranch_execz .LBB1_4
; %bb.3:
	v_add_co_u32 v2, vcc_lo, s3, v0
	v_add_co_ci_u32_e32 v3, vcc_lo, s4, v1, vcc_lo
	v_add_co_u32 v0, vcc_lo, s5, v0
	v_add_co_ci_u32_e32 v1, vcc_lo, s6, v1, vcc_lo
	global_load_b32 v2, v[2:3], off
	s_waitcnt vmcnt(0)
	global_store_b32 v[0:1], v2, off
.LBB1_4:
	s_nop 0
	s_sendmsg sendmsg(MSG_DEALLOC_VGPRS)
	s_endpgm
	.section	.rodata,"a",@progbits
	.p2align	6, 0x0
	.amdhsa_kernel _ZL22rocblas_scopy_2_kernelILi256EPfS0_EviT0_llT1_lli
		.amdhsa_group_segment_fixed_size 0
		.amdhsa_private_segment_fixed_size 0
		.amdhsa_kernarg_size 60
		.amdhsa_user_sgpr_count 14
		.amdhsa_user_sgpr_dispatch_ptr 0
		.amdhsa_user_sgpr_queue_ptr 0
		.amdhsa_user_sgpr_kernarg_segment_ptr 1
		.amdhsa_user_sgpr_dispatch_id 0
		.amdhsa_user_sgpr_private_segment_size 0
		.amdhsa_wavefront_size32 1
		.amdhsa_uses_dynamic_stack 0
		.amdhsa_enable_private_segment 0
		.amdhsa_system_sgpr_workgroup_id_x 1
		.amdhsa_system_sgpr_workgroup_id_y 0
		.amdhsa_system_sgpr_workgroup_id_z 1
		.amdhsa_system_sgpr_workgroup_info 0
		.amdhsa_system_vgpr_workitem_id 0
		.amdhsa_next_free_vgpr 8
		.amdhsa_next_free_sgpr 18
		.amdhsa_reserve_vcc 1
		.amdhsa_float_round_mode_32 0
		.amdhsa_float_round_mode_16_64 0
		.amdhsa_float_denorm_mode_32 3
		.amdhsa_float_denorm_mode_16_64 3
		.amdhsa_dx10_clamp 1
		.amdhsa_ieee_mode 1
		.amdhsa_fp16_overflow 0
		.amdhsa_workgroup_processor_mode 1
		.amdhsa_memory_ordered 1
		.amdhsa_forward_progress 0
		.amdhsa_shared_vgpr_count 0
		.amdhsa_exception_fp_ieee_invalid_op 0
		.amdhsa_exception_fp_denorm_src 0
		.amdhsa_exception_fp_ieee_div_zero 0
		.amdhsa_exception_fp_ieee_overflow 0
		.amdhsa_exception_fp_ieee_underflow 0
		.amdhsa_exception_fp_ieee_inexact 0
		.amdhsa_exception_int_div_zero 0
	.end_amdhsa_kernel
	.section	.text._ZL22rocblas_scopy_2_kernelILi256EPfS0_EviT0_llT1_lli,"axG",@progbits,_ZL22rocblas_scopy_2_kernelILi256EPfS0_EviT0_llT1_lli,comdat
.Lfunc_end1:
	.size	_ZL22rocblas_scopy_2_kernelILi256EPfS0_EviT0_llT1_lli, .Lfunc_end1-_ZL22rocblas_scopy_2_kernelILi256EPfS0_EviT0_llT1_lli
                                        ; -- End function
	.section	.AMDGPU.csdata,"",@progbits
; Kernel info:
; codeLenInByte = 320
; NumSgprs: 20
; NumVgprs: 8
; ScratchSize: 0
; MemoryBound: 0
; FloatMode: 240
; IeeeMode: 1
; LDSByteSize: 0 bytes/workgroup (compile time only)
; SGPRBlocks: 2
; VGPRBlocks: 0
; NumSGPRsForWavesPerEU: 20
; NumVGPRsForWavesPerEU: 8
; Occupancy: 16
; WaveLimiterHint : 0
; COMPUTE_PGM_RSRC2:SCRATCH_EN: 0
; COMPUTE_PGM_RSRC2:USER_SGPR: 14
; COMPUTE_PGM_RSRC2:TRAP_HANDLER: 0
; COMPUTE_PGM_RSRC2:TGID_X_EN: 1
; COMPUTE_PGM_RSRC2:TGID_Y_EN: 0
; COMPUTE_PGM_RSRC2:TGID_Z_EN: 1
; COMPUTE_PGM_RSRC2:TIDIG_COMP_CNT: 0
	.section	.text._ZL19rocblas_copy_kernelIiLi256EPfS0_EviT1_lT_lT2_lS2_li,"axG",@progbits,_ZL19rocblas_copy_kernelIiLi256EPfS0_EviT1_lT_lT2_lS2_li,comdat
	.globl	_ZL19rocblas_copy_kernelIiLi256EPfS0_EviT1_lT_lT2_lS2_li ; -- Begin function _ZL19rocblas_copy_kernelIiLi256EPfS0_EviT1_lT_lT2_lS2_li
	.p2align	8
	.type	_ZL19rocblas_copy_kernelIiLi256EPfS0_EviT1_lT_lT2_lS2_li,@function
_ZL19rocblas_copy_kernelIiLi256EPfS0_EviT1_lT_lT2_lS2_li: ; @_ZL19rocblas_copy_kernelIiLi256EPfS0_EviT1_lT_lT2_lS2_li
; %bb.0:
	s_load_b32 s2, s[0:1], 0x0
	v_lshl_or_b32 v0, s14, 8, v0
	v_mov_b32_e32 v1, 0
	s_waitcnt lgkmcnt(0)
	s_ashr_i32 s3, s2, 31
	s_delay_alu instid0(VALU_DEP_1) | instid1(SALU_CYCLE_1)
	v_cmp_gt_i64_e32 vcc_lo, s[2:3], v[0:1]
	s_and_saveexec_b32 s2, vcc_lo
	s_cbranch_execz .LBB2_2
; %bb.1:
	s_clause 0x5
	s_load_b32 s12, s[0:1], 0x18
	s_load_b32 s13, s[0:1], 0x38
	s_load_b64 s[8:9], s[0:1], 0x40
	s_load_b128 s[4:7], s[0:1], 0x20
	s_load_b64 s[10:11], s[0:1], 0x30
	s_load_b128 s[0:3], s[0:1], 0x8
	s_waitcnt lgkmcnt(0)
	v_mad_u64_u32 v[1:2], null, s12, v0, 0
	s_ashr_i32 s12, s12, 31
	s_mul_i32 s9, s15, s9
	s_mul_hi_u32 s16, s15, s8
	s_mul_i32 s8, s15, s8
	s_add_i32 s9, s16, s9
	s_ashr_i32 s14, s13, 31
	s_delay_alu instid0(VALU_DEP_1)
	v_mad_u64_u32 v[3:4], null, s12, v0, v[2:3]
	s_lshl_b64 s[8:9], s[8:9], 2
	s_mul_i32 s5, s15, s5
	s_add_u32 s8, s6, s8
	s_addc_u32 s9, s7, s9
	s_lshl_b64 s[6:7], s[10:11], 2
	s_mul_hi_u32 s16, s15, s4
	s_delay_alu instid0(VALU_DEP_1)
	v_mov_b32_e32 v2, v3
	s_add_u32 s6, s8, s6
	s_mul_i32 s4, s15, s4
	s_addc_u32 s7, s9, s7
	s_add_i32 s5, s16, s5
	v_lshlrev_b64 v[1:2], 2, v[1:2]
	s_lshl_b64 s[4:5], s[4:5], 2
	s_delay_alu instid0(SALU_CYCLE_1) | instskip(SKIP_2) | instid1(SALU_CYCLE_1)
	s_add_u32 s4, s0, s4
	s_addc_u32 s5, s1, s5
	s_lshl_b64 s[0:1], s[2:3], 2
	s_add_u32 s0, s4, s0
	s_addc_u32 s1, s5, s1
	v_add_co_u32 v1, vcc_lo, s0, v1
	v_add_co_ci_u32_e32 v2, vcc_lo, s1, v2, vcc_lo
	global_load_b32 v5, v[1:2], off
	v_mad_u64_u32 v[1:2], null, s13, v0, 0
	s_delay_alu instid0(VALU_DEP_1) | instskip(NEXT) | instid1(VALU_DEP_1)
	v_mad_u64_u32 v[3:4], null, s14, v0, v[2:3]
	v_mov_b32_e32 v2, v3
	s_delay_alu instid0(VALU_DEP_1) | instskip(NEXT) | instid1(VALU_DEP_1)
	v_lshlrev_b64 v[0:1], 2, v[1:2]
	v_add_co_u32 v0, vcc_lo, s6, v0
	s_delay_alu instid0(VALU_DEP_2)
	v_add_co_ci_u32_e32 v1, vcc_lo, s7, v1, vcc_lo
	s_waitcnt vmcnt(0)
	global_store_b32 v[0:1], v5, off
.LBB2_2:
	s_nop 0
	s_sendmsg sendmsg(MSG_DEALLOC_VGPRS)
	s_endpgm
	.section	.rodata,"a",@progbits
	.p2align	6, 0x0
	.amdhsa_kernel _ZL19rocblas_copy_kernelIiLi256EPfS0_EviT1_lT_lT2_lS2_li
		.amdhsa_group_segment_fixed_size 0
		.amdhsa_private_segment_fixed_size 0
		.amdhsa_kernarg_size 76
		.amdhsa_user_sgpr_count 14
		.amdhsa_user_sgpr_dispatch_ptr 0
		.amdhsa_user_sgpr_queue_ptr 0
		.amdhsa_user_sgpr_kernarg_segment_ptr 1
		.amdhsa_user_sgpr_dispatch_id 0
		.amdhsa_user_sgpr_private_segment_size 0
		.amdhsa_wavefront_size32 1
		.amdhsa_uses_dynamic_stack 0
		.amdhsa_enable_private_segment 0
		.amdhsa_system_sgpr_workgroup_id_x 1
		.amdhsa_system_sgpr_workgroup_id_y 0
		.amdhsa_system_sgpr_workgroup_id_z 1
		.amdhsa_system_sgpr_workgroup_info 0
		.amdhsa_system_vgpr_workitem_id 0
		.amdhsa_next_free_vgpr 6
		.amdhsa_next_free_sgpr 17
		.amdhsa_reserve_vcc 1
		.amdhsa_float_round_mode_32 0
		.amdhsa_float_round_mode_16_64 0
		.amdhsa_float_denorm_mode_32 3
		.amdhsa_float_denorm_mode_16_64 3
		.amdhsa_dx10_clamp 1
		.amdhsa_ieee_mode 1
		.amdhsa_fp16_overflow 0
		.amdhsa_workgroup_processor_mode 1
		.amdhsa_memory_ordered 1
		.amdhsa_forward_progress 0
		.amdhsa_shared_vgpr_count 0
		.amdhsa_exception_fp_ieee_invalid_op 0
		.amdhsa_exception_fp_denorm_src 0
		.amdhsa_exception_fp_ieee_div_zero 0
		.amdhsa_exception_fp_ieee_overflow 0
		.amdhsa_exception_fp_ieee_underflow 0
		.amdhsa_exception_fp_ieee_inexact 0
		.amdhsa_exception_int_div_zero 0
	.end_amdhsa_kernel
	.section	.text._ZL19rocblas_copy_kernelIiLi256EPfS0_EviT1_lT_lT2_lS2_li,"axG",@progbits,_ZL19rocblas_copy_kernelIiLi256EPfS0_EviT1_lT_lT2_lS2_li,comdat
.Lfunc_end2:
	.size	_ZL19rocblas_copy_kernelIiLi256EPfS0_EviT1_lT_lT2_lS2_li, .Lfunc_end2-_ZL19rocblas_copy_kernelIiLi256EPfS0_EviT1_lT_lT2_lS2_li
                                        ; -- End function
	.section	.AMDGPU.csdata,"",@progbits
; Kernel info:
; codeLenInByte = 324
; NumSgprs: 19
; NumVgprs: 6
; ScratchSize: 0
; MemoryBound: 0
; FloatMode: 240
; IeeeMode: 1
; LDSByteSize: 0 bytes/workgroup (compile time only)
; SGPRBlocks: 2
; VGPRBlocks: 0
; NumSGPRsForWavesPerEU: 19
; NumVGPRsForWavesPerEU: 6
; Occupancy: 16
; WaveLimiterHint : 0
; COMPUTE_PGM_RSRC2:SCRATCH_EN: 0
; COMPUTE_PGM_RSRC2:USER_SGPR: 14
; COMPUTE_PGM_RSRC2:TRAP_HANDLER: 0
; COMPUTE_PGM_RSRC2:TGID_X_EN: 1
; COMPUTE_PGM_RSRC2:TGID_Y_EN: 0
; COMPUTE_PGM_RSRC2:TGID_Z_EN: 1
; COMPUTE_PGM_RSRC2:TIDIG_COMP_CNT: 0
	.section	.text._ZL20rocblas_tbmvx_kernelILi64ELi16EPKfPfEv18rocblas_operation_bbiiT1_lllS4_T2_llli,"axG",@progbits,_ZL20rocblas_tbmvx_kernelILi64ELi16EPKfPfEv18rocblas_operation_bbiiT1_lllS4_T2_llli,comdat
	.globl	_ZL20rocblas_tbmvx_kernelILi64ELi16EPKfPfEv18rocblas_operation_bbiiT1_lllS4_T2_llli ; -- Begin function _ZL20rocblas_tbmvx_kernelILi64ELi16EPKfPfEv18rocblas_operation_bbiiT1_lllS4_T2_llli
	.p2align	8
	.type	_ZL20rocblas_tbmvx_kernelILi64ELi16EPKfPfEv18rocblas_operation_bbiiT1_lllS4_T2_llli,@function
_ZL20rocblas_tbmvx_kernelILi64ELi16EPKfPfEv18rocblas_operation_bbiiT1_lllS4_T2_llli: ; @_ZL20rocblas_tbmvx_kernelILi64ELi16EPKfPfEv18rocblas_operation_bbiiT1_lllS4_T2_llli
; %bb.0:
	s_load_b64 s[2:3], s[0:1], 0x6c
	s_waitcnt lgkmcnt(0)
	s_lshr_b32 s4, s2, 16
	s_and_b32 s2, s2, 0xffff
	s_and_b32 s3, s3, 0xffff
	s_mul_i32 s4, s4, s2
	s_delay_alu instid0(SALU_CYCLE_1) | instskip(NEXT) | instid1(SALU_CYCLE_1)
	s_mul_i32 s4, s4, s3
	s_cmpk_lg_i32 s4, 0x400
	s_cbranch_scc1 .LBB3_60
; %bb.1:
	s_clause 0x2
	s_load_b64 s[10:11], s[0:1], 0x0
	s_load_b512 s[16:31], s[0:1], 0x10
	s_load_b128 s[4:7], s[0:1], 0x4
	v_and_b32_e32 v1, 0x3ff, v0
	v_bfe_u32 v0, v0, 10, 10
	s_delay_alu instid0(VALU_DEP_1) | instskip(SKIP_1) | instid1(VALU_DEP_1)
	v_mad_u32_u24 v9, v0, s2, v1
	s_mov_b32 s2, -1
	v_and_b32_e32 v10, 63, v9
	v_lshrrev_b32_e32 v0, 6, v9
	s_waitcnt lgkmcnt(0)
	s_bitcmp1_b32 s11, 0
	s_mul_i32 s3, s15, s23
	s_mul_hi_u32 s9, s15, s22
	s_cselect_b32 s7, -1, 0
	s_bitcmp1_b32 s4, 8
	s_mul_hi_u32 s11, s5, s15
	s_cselect_b32 s12, -1, 0
	s_add_i32 s9, s9, s3
	s_ashr_i32 s3, s5, 31
	s_lshl_b32 s4, s14, 6
	s_mul_i32 s3, s3, s15
	v_or_b32_e32 v2, s4, v10
	s_add_i32 s11, s11, s3
	s_mul_i32 s8, s15, s22
	s_cmpk_lg_i32 s10, 0x6f
	s_mul_i32 s10, s5, s15
	s_cbranch_scc0 .LBB3_32
; %bb.2:
	v_mov_b32_e32 v1, 0
	v_cmp_ge_i32_e64 s2, s6, v0
	s_delay_alu instid0(VALU_DEP_2) | instskip(NEXT) | instid1(VALU_DEP_2)
	v_cmp_gt_i64_e32 vcc_lo, s[20:21], v[0:1]
	s_and_b32 s2, s2, vcc_lo
	s_delay_alu instid0(SALU_CYCLE_1)
	s_and_saveexec_b32 s13, s2
	s_cbranch_execz .LBB3_31
; %bb.3:
	v_ashrrev_i32_e32 v3, 31, v2
	v_mul_lo_u32 v6, v2, s21
	v_mad_u64_u32 v[4:5], null, v2, s20, 0
	s_lshl_b64 s[34:35], s[8:9], 2
	s_delay_alu instid0(VALU_DEP_3)
	v_mul_lo_u32 v7, v3, s20
	s_xor_b32 s14, s7, -1
	s_xor_b32 s22, s12, -1
	s_add_u32 s3, s16, s34
	s_addc_u32 s23, s17, s35
	s_lshl_b64 s[34:35], s[18:19], 2
	v_mov_b32_e32 v13, 0
	s_add_u32 s3, s3, s34
	v_add3_u32 v5, v5, v6, v7
	v_lshlrev_b64 v[6:7], 2, v[2:3]
	s_addc_u32 s36, s23, s35
	s_lshl_b64 s[34:35], s[10:11], 2
	v_cmp_gt_i32_e64 s2, s5, v2
	v_lshlrev_b64 v[4:5], 2, v[4:5]
	s_add_u32 s23, s24, s34
	s_addc_u32 s33, s25, s35
	v_xad_u32 v11, v2, -1, s5
	v_sub_nc_u32_e32 v12, s6, v2
	s_mov_b32 s34, 0
	v_add_co_u32 v3, vcc_lo, s3, v4
	v_add_co_ci_u32_e32 v4, vcc_lo, s36, v5, vcc_lo
	v_add_co_u32 v5, vcc_lo, s23, v6
	v_add_co_ci_u32_e32 v6, vcc_lo, s33, v7, vcc_lo
	v_dual_mov_b32 v8, v1 :: v_dual_mov_b32 v7, v0
	v_mov_b32_e32 v1, v13
	s_branch .LBB3_9
.LBB3_4:                                ;   in Loop: Header=BB3_9 Depth=1
	s_delay_alu instid0(VALU_DEP_1)
	v_mov_b32_e32 v1, v8
.LBB3_5:                                ;   in Loop: Header=BB3_9 Depth=1
	s_or_b32 exec_lo, exec_lo, s36
.LBB3_6:                                ;   in Loop: Header=BB3_9 Depth=1
	s_delay_alu instid0(SALU_CYCLE_1) | instskip(NEXT) | instid1(VALU_DEP_1)
	s_or_b32 exec_lo, exec_lo, s3
	v_mov_b32_e32 v13, v1
.LBB3_7:                                ;   in Loop: Header=BB3_9 Depth=1
	s_delay_alu instid0(VALU_DEP_1)
	v_mov_b32_e32 v1, v13
.LBB3_8:                                ;   in Loop: Header=BB3_9 Depth=1
	s_or_b32 exec_lo, exec_lo, s35
	v_add_nc_u32_e32 v7, 16, v7
	s_delay_alu instid0(VALU_DEP_1) | instskip(SKIP_1) | instid1(VALU_DEP_2)
	v_ashrrev_i32_e32 v8, 31, v7
	v_cmp_lt_i32_e64 s3, s6, v7
	v_cmp_le_i64_e32 vcc_lo, s[20:21], v[7:8]
	s_delay_alu instid0(VALU_DEP_2) | instskip(NEXT) | instid1(SALU_CYCLE_1)
	s_or_b32 s3, s3, vcc_lo
	s_and_b32 s3, exec_lo, s3
	s_delay_alu instid0(SALU_CYCLE_1) | instskip(NEXT) | instid1(SALU_CYCLE_1)
	s_or_b32 s34, s3, s34
	s_and_not1_b32 exec_lo, exec_lo, s34
	s_cbranch_execz .LBB3_30
.LBB3_9:                                ; =>This Inner Loop Header: Depth=1
	s_and_saveexec_b32 s35, s2
	s_cbranch_execz .LBB3_8
; %bb.10:                               ;   in Loop: Header=BB3_9 Depth=1
	s_and_b32 vcc_lo, exec_lo, s14
	s_cbranch_vccz .LBB3_15
; %bb.11:                               ;   in Loop: Header=BB3_9 Depth=1
	v_cmp_gt_i64_e32 vcc_lo, 1, v[7:8]
	v_cmp_lt_i32_e64 s3, v11, v7
                                        ; implicit-def: $vgpr13
	s_delay_alu instid0(VALU_DEP_1) | instskip(NEXT) | instid1(SALU_CYCLE_1)
	s_or_b32 s3, vcc_lo, s3
	s_and_saveexec_b32 s36, s3
	s_delay_alu instid0(SALU_CYCLE_1)
	s_xor_b32 s3, exec_lo, s36
	s_cbranch_execz .LBB3_19
; %bb.12:                               ;   in Loop: Header=BB3_9 Depth=1
	v_mov_b32_e32 v13, v1
	s_mov_b32 s36, exec_lo
	v_cmpx_eq_u64_e32 0, v[7:8]
	s_cbranch_execz .LBB3_18
; %bb.13:                               ;   in Loop: Header=BB3_9 Depth=1
	s_and_b32 vcc_lo, exec_lo, s22
	s_cbranch_vccz .LBB3_16
; %bb.14:                               ;   in Loop: Header=BB3_9 Depth=1
	global_load_b32 v13, v[3:4], off
	global_load_b32 v14, v[5:6], off
	s_waitcnt vmcnt(0)
	v_fma_f32 v13, v13, v14, v1
	s_cbranch_execz .LBB3_17
	s_branch .LBB3_18
.LBB3_15:                               ;   in Loop: Header=BB3_9 Depth=1
                                        ; implicit-def: $vgpr13
	s_branch .LBB3_22
.LBB3_16:                               ;   in Loop: Header=BB3_9 Depth=1
                                        ; implicit-def: $vgpr13
.LBB3_17:                               ;   in Loop: Header=BB3_9 Depth=1
	global_load_b32 v13, v[5:6], off
	s_waitcnt vmcnt(0)
	v_add_f32_e32 v13, v1, v13
.LBB3_18:                               ;   in Loop: Header=BB3_9 Depth=1
	s_or_b32 exec_lo, exec_lo, s36
.LBB3_19:                               ;   in Loop: Header=BB3_9 Depth=1
	s_and_not1_saveexec_b32 s3, s3
	s_cbranch_execz .LBB3_21
; %bb.20:                               ;   in Loop: Header=BB3_9 Depth=1
	v_add_nc_u32_e32 v13, v2, v7
	v_lshlrev_b64 v[15:16], 2, v[7:8]
	s_delay_alu instid0(VALU_DEP_2) | instskip(NEXT) | instid1(VALU_DEP_2)
	v_ashrrev_i32_e32 v14, 31, v13
	v_add_co_u32 v15, vcc_lo, v3, v15
	s_delay_alu instid0(VALU_DEP_3) | instskip(NEXT) | instid1(VALU_DEP_3)
	v_add_co_ci_u32_e32 v16, vcc_lo, v4, v16, vcc_lo
	v_lshlrev_b64 v[13:14], 2, v[13:14]
	s_delay_alu instid0(VALU_DEP_1) | instskip(NEXT) | instid1(VALU_DEP_2)
	v_add_co_u32 v13, vcc_lo, s23, v13
	v_add_co_ci_u32_e32 v14, vcc_lo, s33, v14, vcc_lo
	global_load_b32 v15, v[15:16], off
	global_load_b32 v13, v[13:14], off
	s_waitcnt vmcnt(0)
	v_fma_f32 v13, v15, v13, v1
.LBB3_21:                               ;   in Loop: Header=BB3_9 Depth=1
	s_or_b32 exec_lo, exec_lo, s3
	s_cbranch_execnz .LBB3_7
.LBB3_22:                               ;   in Loop: Header=BB3_9 Depth=1
	v_cmp_gt_i32_e32 vcc_lo, s6, v7
	v_cmp_ge_i32_e64 s3, v7, v12
	s_delay_alu instid0(VALU_DEP_1) | instskip(NEXT) | instid1(SALU_CYCLE_1)
	s_and_b32 s3, vcc_lo, s3
	s_and_saveexec_b32 s36, s3
	s_delay_alu instid0(SALU_CYCLE_1)
	s_xor_b32 s3, exec_lo, s36
	s_cbranch_execz .LBB3_24
; %bb.23:                               ;   in Loop: Header=BB3_9 Depth=1
	v_sub_nc_u32_e32 v13, v7, v12
	v_lshlrev_b64 v[15:16], 2, v[7:8]
	s_delay_alu instid0(VALU_DEP_2) | instskip(NEXT) | instid1(VALU_DEP_2)
	v_ashrrev_i32_e32 v14, 31, v13
	v_add_co_u32 v15, vcc_lo, v3, v15
	s_delay_alu instid0(VALU_DEP_3) | instskip(NEXT) | instid1(VALU_DEP_3)
	v_add_co_ci_u32_e32 v16, vcc_lo, v4, v16, vcc_lo
	v_lshlrev_b64 v[13:14], 2, v[13:14]
	s_delay_alu instid0(VALU_DEP_1) | instskip(NEXT) | instid1(VALU_DEP_2)
	v_add_co_u32 v13, vcc_lo, s23, v13
	v_add_co_ci_u32_e32 v14, vcc_lo, s33, v14, vcc_lo
	global_load_b32 v15, v[15:16], off
	global_load_b32 v13, v[13:14], off
	s_waitcnt vmcnt(0)
	v_fmac_f32_e32 v1, v15, v13
.LBB3_24:                               ;   in Loop: Header=BB3_9 Depth=1
	s_and_not1_saveexec_b32 s3, s3
	s_cbranch_execz .LBB3_6
; %bb.25:                               ;   in Loop: Header=BB3_9 Depth=1
	s_mov_b32 s36, exec_lo
	v_cmpx_eq_u32_e64 s6, v7
	s_cbranch_execz .LBB3_5
; %bb.26:                               ;   in Loop: Header=BB3_9 Depth=1
	s_and_b32 vcc_lo, exec_lo, s22
	s_cbranch_vccz .LBB3_28
; %bb.27:                               ;   in Loop: Header=BB3_9 Depth=1
	v_lshlrev_b64 v[13:14], 2, v[7:8]
	s_delay_alu instid0(VALU_DEP_1) | instskip(NEXT) | instid1(VALU_DEP_2)
	v_add_co_u32 v13, vcc_lo, v3, v13
	v_add_co_ci_u32_e32 v14, vcc_lo, v4, v14, vcc_lo
	global_load_b32 v8, v[13:14], off
	global_load_b32 v13, v[5:6], off
	s_waitcnt vmcnt(0)
	v_fma_f32 v8, v8, v13, v1
	s_cbranch_execnz .LBB3_4
	s_branch .LBB3_29
.LBB3_28:                               ;   in Loop: Header=BB3_9 Depth=1
                                        ; implicit-def: $vgpr8
.LBB3_29:                               ;   in Loop: Header=BB3_9 Depth=1
	global_load_b32 v8, v[5:6], off
	s_waitcnt vmcnt(0)
	v_add_f32_e32 v8, v1, v8
	s_branch .LBB3_4
.LBB3_30:
	s_or_b32 exec_lo, exec_lo, s34
.LBB3_31:
	s_delay_alu instid0(SALU_CYCLE_1)
	s_or_b32 exec_lo, exec_lo, s13
	s_mov_b32 s2, 0
.LBB3_32:
	s_delay_alu instid0(SALU_CYCLE_1)
	s_and_not1_b32 vcc_lo, exec_lo, s2
	s_cbranch_vccnz .LBB3_58
; %bb.33:
	v_mov_b32_e32 v1, 0
	s_mov_b32 s13, exec_lo
	v_cmpx_gt_i32_e64 s5, v0
	s_cbranch_execz .LBB3_57
; %bb.34:
	v_mad_u64_u32 v[6:7], null, s20, v0, 0
	s_and_b32 s2, s7, exec_lo
	s_cselect_b32 s3, s6, 0
	s_and_b32 s2, s7, s12
	s_xor_b32 s12, s12, -1
	s_xor_b32 s14, s2, -1
	s_cmp_lg_u32 s6, 0
	s_delay_alu instid0(VALU_DEP_1)
	v_mov_b32_e32 v1, v7
	s_cselect_b32 s2, -1, 0
	s_lshl_b64 s[10:11], s[10:11], 2
	s_and_b32 s7, s2, s7
	v_cmp_gt_i32_e64 s2, s5, v2
	v_mad_u64_u32 v[2:3], null, s21, v0, v[1:2]
	s_or_b32 s7, s7, s12
	v_lshlrev_b32_e32 v1, 2, v0
	s_xor_b32 s12, s7, -1
	s_ashr_i32 s7, s6, 31
	s_add_u32 s10, s24, s10
	s_addc_u32 s11, s25, s11
	s_delay_alu instid0(VALU_DEP_2) | instskip(SKIP_1) | instid1(VALU_DEP_1)
	v_mov_b32_e32 v7, v2
	v_add_co_u32 v4, s10, s10, v1
	v_add_co_ci_u32_e64 v5, null, s11, 0, s10
	s_delay_alu instid0(VALU_DEP_3)
	v_lshlrev_b64 v[1:2], 2, v[6:7]
	s_lshl_b64 s[10:11], s[18:19], 2
	s_lshl_b64 s[8:9], s[8:9], 2
	s_add_u32 s10, s16, s10
	v_mov_b32_e32 v3, 0
	s_addc_u32 s11, s17, s11
	v_add3_u32 v8, s3, s4, v10
	s_add_u32 s8, s10, s8
	s_addc_u32 s9, s11, s9
	v_add_co_u32 v6, vcc_lo, s8, v1
	v_add_co_ci_u32_e32 v7, vcc_lo, s9, v2, vcc_lo
	v_sub_nc_u32_e32 v2, v8, v0
	v_mov_b32_e32 v1, v3
	s_mov_b32 s16, 0
	s_lshl_b64 s[8:9], s[20:21], 6
	s_lshl_b64 s[10:11], s[6:7], 2
	s_branch .LBB3_37
.LBB3_35:                               ;   in Loop: Header=BB3_37 Depth=1
	s_or_b32 exec_lo, exec_lo, s3
.LBB3_36:                               ;   in Loop: Header=BB3_37 Depth=1
	s_delay_alu instid0(SALU_CYCLE_1) | instskip(SKIP_3) | instid1(VALU_DEP_3)
	s_or_b32 exec_lo, exec_lo, s7
	v_add_nc_u32_e32 v0, 16, v0
	v_add_co_u32 v4, vcc_lo, v4, 64
	v_add_co_ci_u32_e32 v5, vcc_lo, 0, v5, vcc_lo
	v_cmp_le_i32_e32 vcc_lo, s5, v0
	v_add_co_u32 v6, s3, v6, s8
	s_delay_alu instid0(VALU_DEP_1) | instskip(SKIP_2) | instid1(SALU_CYCLE_1)
	v_add_co_ci_u32_e64 v7, s3, s9, v7, s3
	v_add_nc_u32_e32 v2, -16, v2
	s_or_b32 s16, vcc_lo, s16
	s_and_not1_b32 exec_lo, exec_lo, s16
	s_cbranch_execz .LBB3_56
.LBB3_37:                               ; =>This Inner Loop Header: Depth=1
	s_and_saveexec_b32 s7, s2
	s_cbranch_execz .LBB3_36
; %bb.38:                               ;   in Loop: Header=BB3_37 Depth=1
	v_cmp_le_i32_e32 vcc_lo, s6, v2
	v_cmp_gt_i32_e64 s3, 1, v2
	s_delay_alu instid0(VALU_DEP_1) | instskip(NEXT) | instid1(SALU_CYCLE_1)
	s_or_b32 s3, vcc_lo, s3
	s_and_saveexec_b32 s17, s3
	s_delay_alu instid0(SALU_CYCLE_1)
	s_xor_b32 s3, exec_lo, s17
	s_cbranch_execz .LBB3_54
; %bb.39:                               ;   in Loop: Header=BB3_37 Depth=1
	s_mov_b32 s17, exec_lo
	v_cmpx_ne_u32_e32 0, v2
	s_xor_b32 s17, exec_lo, s17
	s_cbranch_execz .LBB3_47
; %bb.40:                               ;   in Loop: Header=BB3_37 Depth=1
	s_mov_b32 s18, exec_lo
	v_cmpx_eq_u32_e64 s6, v2
	s_cbranch_execz .LBB3_46
; %bb.41:                               ;   in Loop: Header=BB3_37 Depth=1
	s_and_b32 vcc_lo, exec_lo, s14
	s_cbranch_vccz .LBB3_43
; %bb.42:                               ;   in Loop: Header=BB3_37 Depth=1
	v_add_co_u32 v10, vcc_lo, v6, s10
	v_add_co_ci_u32_e32 v11, vcc_lo, s11, v7, vcc_lo
	global_load_b32 v8, v[10:11], off
	global_load_b32 v10, v[4:5], off
	s_waitcnt vmcnt(0)
	v_fma_f32 v8, v8, v10, v1
	s_cbranch_execz .LBB3_44
	s_branch .LBB3_45
.LBB3_43:                               ;   in Loop: Header=BB3_37 Depth=1
                                        ; implicit-def: $vgpr8
.LBB3_44:                               ;   in Loop: Header=BB3_37 Depth=1
	global_load_b32 v8, v[4:5], off
	s_waitcnt vmcnt(0)
	v_add_f32_e32 v8, v1, v8
.LBB3_45:                               ;   in Loop: Header=BB3_37 Depth=1
	s_delay_alu instid0(VALU_DEP_1)
	v_mov_b32_e32 v1, v8
.LBB3_46:                               ;   in Loop: Header=BB3_37 Depth=1
	s_or_b32 exec_lo, exec_lo, s18
.LBB3_47:                               ;   in Loop: Header=BB3_37 Depth=1
	s_and_not1_saveexec_b32 s17, s17
	s_cbranch_execz .LBB3_53
; %bb.48:                               ;   in Loop: Header=BB3_37 Depth=1
	s_and_not1_b32 vcc_lo, exec_lo, s12
	s_cbranch_vccnz .LBB3_50
; %bb.49:                               ;   in Loop: Header=BB3_37 Depth=1
	global_load_b32 v8, v[4:5], off
	s_waitcnt vmcnt(0)
	v_add_f32_e32 v8, v1, v8
	s_cbranch_execz .LBB3_51
	s_branch .LBB3_52
.LBB3_50:                               ;   in Loop: Header=BB3_37 Depth=1
                                        ; implicit-def: $vgpr8
.LBB3_51:                               ;   in Loop: Header=BB3_37 Depth=1
	global_load_b32 v8, v[6:7], off
	global_load_b32 v10, v[4:5], off
	s_waitcnt vmcnt(0)
	v_fmac_f32_e32 v1, v8, v10
	s_delay_alu instid0(VALU_DEP_1)
	v_mov_b32_e32 v8, v1
.LBB3_52:                               ;   in Loop: Header=BB3_37 Depth=1
	s_delay_alu instid0(VALU_DEP_1)
	v_mov_b32_e32 v1, v8
.LBB3_53:                               ;   in Loop: Header=BB3_37 Depth=1
	s_or_b32 exec_lo, exec_lo, s17
.LBB3_54:                               ;   in Loop: Header=BB3_37 Depth=1
	s_and_not1_saveexec_b32 s3, s3
	s_cbranch_execz .LBB3_35
; %bb.55:                               ;   in Loop: Header=BB3_37 Depth=1
	v_lshlrev_b64 v[10:11], 2, v[2:3]
	s_delay_alu instid0(VALU_DEP_1) | instskip(NEXT) | instid1(VALU_DEP_2)
	v_add_co_u32 v10, vcc_lo, v6, v10
	v_add_co_ci_u32_e32 v11, vcc_lo, v7, v11, vcc_lo
	global_load_b32 v8, v[10:11], off
	global_load_b32 v10, v[4:5], off
	s_waitcnt vmcnt(0)
	v_fmac_f32_e32 v1, v8, v10
	s_branch .LBB3_35
.LBB3_56:
	s_or_b32 exec_lo, exec_lo, s16
.LBB3_57:
	s_delay_alu instid0(SALU_CYCLE_1)
	s_or_b32 exec_lo, exec_lo, s13
.LBB3_58:
	v_add_nc_u32_e32 v2, s4, v9
	v_cmp_gt_u32_e32 vcc_lo, 64, v9
	v_lshlrev_b32_e32 v0, 2, v9
	s_delay_alu instid0(VALU_DEP_3)
	v_cmp_gt_i32_e64 s2, s5, v2
	ds_store_b32 v0, v1
	s_waitcnt lgkmcnt(0)
	s_barrier
	s_and_b32 s2, vcc_lo, s2
	buffer_gl0_inv
	s_and_saveexec_b32 s3, s2
	s_cbranch_execz .LBB3_60
; %bb.59:
	ds_load_2addr_stride64_b32 v[3:4], v0 offset1:1
	ds_load_2addr_stride64_b32 v[5:6], v0 offset0:2 offset1:3
	ds_load_2addr_stride64_b32 v[7:8], v0 offset0:4 offset1:5
	;; [unrolled: 1-line block ×3, first 2 shown]
	s_load_b64 s[0:1], s[0:1], 0x50
	v_ashrrev_i32_e32 v11, 31, v2
	v_mul_lo_u32 v12, v2, s31
	s_waitcnt lgkmcnt(0)
	v_add_f32_e32 v1, v3, v4
	ds_load_2addr_stride64_b32 v[3:4], v0 offset0:8 offset1:9
	s_mul_i32 s1, s15, s1
	v_add_f32_e32 v1, v5, v1
	s_mul_hi_u32 s2, s15, s0
	s_mul_i32 s0, s15, s0
	s_add_i32 s1, s2, s1
	s_delay_alu instid0(SALU_CYCLE_1)
	s_lshl_b64 s[0:1], s[0:1], 2
	v_add_f32_e32 v1, v6, v1
	ds_load_2addr_stride64_b32 v[5:6], v0 offset0:10 offset1:11
	s_add_u32 s2, s26, s0
	s_addc_u32 s3, s27, s1
	s_lshl_b64 s[0:1], s[28:29], 2
	v_add_f32_e32 v1, v7, v1
	s_add_u32 s0, s2, s0
	s_addc_u32 s1, s3, s1
	s_delay_alu instid0(VALU_DEP_1) | instskip(NEXT) | instid1(VALU_DEP_1)
	v_add_f32_e32 v1, v8, v1
	v_add_f32_e32 v1, v9, v1
	s_delay_alu instid0(VALU_DEP_1) | instskip(SKIP_4) | instid1(VALU_DEP_1)
	v_add_f32_e32 v1, v10, v1
	ds_load_2addr_stride64_b32 v[7:8], v0 offset0:12 offset1:13
	ds_load_2addr_stride64_b32 v[9:10], v0 offset0:14 offset1:15
	s_waitcnt lgkmcnt(3)
	v_add_f32_e32 v1, v3, v1
	v_add_f32_e32 v1, v4, v1
	v_mad_u64_u32 v[3:4], null, v2, s30, 0
	v_mul_lo_u32 v2, v11, s30
	s_waitcnt lgkmcnt(2)
	s_delay_alu instid0(VALU_DEP_3) | instskip(NEXT) | instid1(VALU_DEP_1)
	v_add_f32_e32 v1, v5, v1
	v_add_f32_e32 v1, v6, v1
	s_delay_alu instid0(VALU_DEP_3) | instskip(SKIP_1) | instid1(VALU_DEP_2)
	v_add3_u32 v4, v4, v12, v2
	s_waitcnt lgkmcnt(1)
	v_add_f32_e32 v1, v7, v1
	s_delay_alu instid0(VALU_DEP_1) | instskip(NEXT) | instid1(VALU_DEP_3)
	v_add_f32_e32 v5, v8, v1
	v_lshlrev_b64 v[1:2], 2, v[3:4]
	s_waitcnt lgkmcnt(0)
	s_delay_alu instid0(VALU_DEP_2) | instskip(NEXT) | instid1(VALU_DEP_2)
	v_add_f32_e32 v3, v9, v5
	v_add_co_u32 v1, vcc_lo, s0, v1
	s_delay_alu instid0(VALU_DEP_3) | instskip(NEXT) | instid1(VALU_DEP_3)
	v_add_co_ci_u32_e32 v2, vcc_lo, s1, v2, vcc_lo
	v_add_f32_e32 v3, v10, v3
	ds_store_b32 v0, v3
	global_store_b32 v[1:2], v3, off
.LBB3_60:
	s_nop 0
	s_sendmsg sendmsg(MSG_DEALLOC_VGPRS)
	s_endpgm
	.section	.rodata,"a",@progbits
	.p2align	6, 0x0
	.amdhsa_kernel _ZL20rocblas_tbmvx_kernelILi64ELi16EPKfPfEv18rocblas_operation_bbiiT1_lllS4_T2_llli
		.amdhsa_group_segment_fixed_size 4096
		.amdhsa_private_segment_fixed_size 0
		.amdhsa_kernarg_size 352
		.amdhsa_user_sgpr_count 14
		.amdhsa_user_sgpr_dispatch_ptr 0
		.amdhsa_user_sgpr_queue_ptr 0
		.amdhsa_user_sgpr_kernarg_segment_ptr 1
		.amdhsa_user_sgpr_dispatch_id 0
		.amdhsa_user_sgpr_private_segment_size 0
		.amdhsa_wavefront_size32 1
		.amdhsa_uses_dynamic_stack 0
		.amdhsa_enable_private_segment 0
		.amdhsa_system_sgpr_workgroup_id_x 1
		.amdhsa_system_sgpr_workgroup_id_y 0
		.amdhsa_system_sgpr_workgroup_id_z 1
		.amdhsa_system_sgpr_workgroup_info 0
		.amdhsa_system_vgpr_workitem_id 1
		.amdhsa_next_free_vgpr 17
		.amdhsa_next_free_sgpr 37
		.amdhsa_reserve_vcc 1
		.amdhsa_float_round_mode_32 0
		.amdhsa_float_round_mode_16_64 0
		.amdhsa_float_denorm_mode_32 3
		.amdhsa_float_denorm_mode_16_64 3
		.amdhsa_dx10_clamp 1
		.amdhsa_ieee_mode 1
		.amdhsa_fp16_overflow 0
		.amdhsa_workgroup_processor_mode 1
		.amdhsa_memory_ordered 1
		.amdhsa_forward_progress 0
		.amdhsa_shared_vgpr_count 0
		.amdhsa_exception_fp_ieee_invalid_op 0
		.amdhsa_exception_fp_denorm_src 0
		.amdhsa_exception_fp_ieee_div_zero 0
		.amdhsa_exception_fp_ieee_overflow 0
		.amdhsa_exception_fp_ieee_underflow 0
		.amdhsa_exception_fp_ieee_inexact 0
		.amdhsa_exception_int_div_zero 0
	.end_amdhsa_kernel
	.section	.text._ZL20rocblas_tbmvx_kernelILi64ELi16EPKfPfEv18rocblas_operation_bbiiT1_lllS4_T2_llli,"axG",@progbits,_ZL20rocblas_tbmvx_kernelILi64ELi16EPKfPfEv18rocblas_operation_bbiiT1_lllS4_T2_llli,comdat
.Lfunc_end3:
	.size	_ZL20rocblas_tbmvx_kernelILi64ELi16EPKfPfEv18rocblas_operation_bbiiT1_lllS4_T2_llli, .Lfunc_end3-_ZL20rocblas_tbmvx_kernelILi64ELi16EPKfPfEv18rocblas_operation_bbiiT1_lllS4_T2_llli
                                        ; -- End function
	.section	.AMDGPU.csdata,"",@progbits
; Kernel info:
; codeLenInByte = 1956
; NumSgprs: 39
; NumVgprs: 17
; ScratchSize: 0
; MemoryBound: 0
; FloatMode: 240
; IeeeMode: 1
; LDSByteSize: 4096 bytes/workgroup (compile time only)
; SGPRBlocks: 4
; VGPRBlocks: 2
; NumSGPRsForWavesPerEU: 39
; NumVGPRsForWavesPerEU: 17
; Occupancy: 16
; WaveLimiterHint : 0
; COMPUTE_PGM_RSRC2:SCRATCH_EN: 0
; COMPUTE_PGM_RSRC2:USER_SGPR: 14
; COMPUTE_PGM_RSRC2:TRAP_HANDLER: 0
; COMPUTE_PGM_RSRC2:TGID_X_EN: 1
; COMPUTE_PGM_RSRC2:TGID_Y_EN: 0
; COMPUTE_PGM_RSRC2:TGID_Z_EN: 1
; COMPUTE_PGM_RSRC2:TIDIG_COMP_CNT: 1
	.section	.text._ZL19rocblas_copy_kernelIlLi256EPdS0_EviT1_lT_lT2_lS2_li,"axG",@progbits,_ZL19rocblas_copy_kernelIlLi256EPdS0_EviT1_lT_lT2_lS2_li,comdat
	.globl	_ZL19rocblas_copy_kernelIlLi256EPdS0_EviT1_lT_lT2_lS2_li ; -- Begin function _ZL19rocblas_copy_kernelIlLi256EPdS0_EviT1_lT_lT2_lS2_li
	.p2align	8
	.type	_ZL19rocblas_copy_kernelIlLi256EPdS0_EviT1_lT_lT2_lS2_li,@function
_ZL19rocblas_copy_kernelIlLi256EPdS0_EviT1_lT_lT2_lS2_li: ; @_ZL19rocblas_copy_kernelIlLi256EPdS0_EviT1_lT_lT2_lS2_li
; %bb.0:
	s_load_b32 s2, s[0:1], 0x0
	v_lshl_or_b32 v0, s14, 8, v0
	v_mov_b32_e32 v1, 0
	s_waitcnt lgkmcnt(0)
	s_ashr_i32 s3, s2, 31
	s_delay_alu instid0(VALU_DEP_1) | instid1(SALU_CYCLE_1)
	v_cmp_gt_i64_e32 vcc_lo, s[2:3], v[0:1]
	s_and_saveexec_b32 s2, vcc_lo
	s_cbranch_execz .LBB4_2
; %bb.1:
	s_load_b512 s[16:31], s[0:1], 0x8
	s_waitcnt lgkmcnt(0)
	v_mad_u64_u32 v[1:2], null, v0, s20, 0
	s_mul_i32 s1, s15, s31
	s_mul_hi_u32 s2, s15, s30
	s_mul_i32 s0, s15, s30
	s_add_i32 s1, s2, s1
	s_mul_i32 s3, s15, s23
	s_lshl_b64 s[0:1], s[0:1], 3
	s_delay_alu instid0(VALU_DEP_1)
	v_mad_u64_u32 v[3:4], null, v0, s21, v[2:3]
	s_add_u32 s5, s24, s0
	s_addc_u32 s6, s25, s1
	s_lshl_b64 s[0:1], s[26:27], 3
	s_mul_hi_u32 s4, s15, s22
	s_add_u32 s5, s5, s0
	s_mul_i32 s2, s15, s22
	s_delay_alu instid0(VALU_DEP_1)
	v_mov_b32_e32 v2, v3
	s_addc_u32 s6, s6, s1
	s_add_i32 s3, s4, s3
	v_mad_u64_u32 v[3:4], null, v0, s28, 0
	s_lshl_b64 s[0:1], s[2:3], 3
	v_lshlrev_b64 v[1:2], 3, v[1:2]
	s_add_u32 s2, s16, s0
	s_addc_u32 s3, s17, s1
	s_lshl_b64 s[0:1], s[18:19], 3
	s_delay_alu instid0(SALU_CYCLE_1)
	s_add_u32 s0, s2, s0
	s_addc_u32 s1, s3, s1
	v_add_co_u32 v1, vcc_lo, s0, v1
	v_add_co_ci_u32_e32 v2, vcc_lo, s1, v2, vcc_lo
	v_mad_u64_u32 v[5:6], null, v0, s29, v[4:5]
	global_load_b64 v[1:2], v[1:2], off
	v_mov_b32_e32 v4, v5
	s_delay_alu instid0(VALU_DEP_1) | instskip(NEXT) | instid1(VALU_DEP_1)
	v_lshlrev_b64 v[3:4], 3, v[3:4]
	v_add_co_u32 v3, vcc_lo, s5, v3
	s_delay_alu instid0(VALU_DEP_2)
	v_add_co_ci_u32_e32 v4, vcc_lo, s6, v4, vcc_lo
	s_waitcnt vmcnt(0)
	global_store_b64 v[3:4], v[1:2], off
.LBB4_2:
	s_nop 0
	s_sendmsg sendmsg(MSG_DEALLOC_VGPRS)
	s_endpgm
	.section	.rodata,"a",@progbits
	.p2align	6, 0x0
	.amdhsa_kernel _ZL19rocblas_copy_kernelIlLi256EPdS0_EviT1_lT_lT2_lS2_li
		.amdhsa_group_segment_fixed_size 0
		.amdhsa_private_segment_fixed_size 0
		.amdhsa_kernarg_size 76
		.amdhsa_user_sgpr_count 14
		.amdhsa_user_sgpr_dispatch_ptr 0
		.amdhsa_user_sgpr_queue_ptr 0
		.amdhsa_user_sgpr_kernarg_segment_ptr 1
		.amdhsa_user_sgpr_dispatch_id 0
		.amdhsa_user_sgpr_private_segment_size 0
		.amdhsa_wavefront_size32 1
		.amdhsa_uses_dynamic_stack 0
		.amdhsa_enable_private_segment 0
		.amdhsa_system_sgpr_workgroup_id_x 1
		.amdhsa_system_sgpr_workgroup_id_y 0
		.amdhsa_system_sgpr_workgroup_id_z 1
		.amdhsa_system_sgpr_workgroup_info 0
		.amdhsa_system_vgpr_workitem_id 0
		.amdhsa_next_free_vgpr 7
		.amdhsa_next_free_sgpr 32
		.amdhsa_reserve_vcc 1
		.amdhsa_float_round_mode_32 0
		.amdhsa_float_round_mode_16_64 0
		.amdhsa_float_denorm_mode_32 3
		.amdhsa_float_denorm_mode_16_64 3
		.amdhsa_dx10_clamp 1
		.amdhsa_ieee_mode 1
		.amdhsa_fp16_overflow 0
		.amdhsa_workgroup_processor_mode 1
		.amdhsa_memory_ordered 1
		.amdhsa_forward_progress 0
		.amdhsa_shared_vgpr_count 0
		.amdhsa_exception_fp_ieee_invalid_op 0
		.amdhsa_exception_fp_denorm_src 0
		.amdhsa_exception_fp_ieee_div_zero 0
		.amdhsa_exception_fp_ieee_overflow 0
		.amdhsa_exception_fp_ieee_underflow 0
		.amdhsa_exception_fp_ieee_inexact 0
		.amdhsa_exception_int_div_zero 0
	.end_amdhsa_kernel
	.section	.text._ZL19rocblas_copy_kernelIlLi256EPdS0_EviT1_lT_lT2_lS2_li,"axG",@progbits,_ZL19rocblas_copy_kernelIlLi256EPdS0_EviT1_lT_lT2_lS2_li,comdat
.Lfunc_end4:
	.size	_ZL19rocblas_copy_kernelIlLi256EPdS0_EviT1_lT_lT2_lS2_li, .Lfunc_end4-_ZL19rocblas_copy_kernelIlLi256EPdS0_EviT1_lT_lT2_lS2_li
                                        ; -- End function
	.section	.AMDGPU.csdata,"",@progbits
; Kernel info:
; codeLenInByte = 268
; NumSgprs: 34
; NumVgprs: 7
; ScratchSize: 0
; MemoryBound: 0
; FloatMode: 240
; IeeeMode: 1
; LDSByteSize: 0 bytes/workgroup (compile time only)
; SGPRBlocks: 4
; VGPRBlocks: 0
; NumSGPRsForWavesPerEU: 34
; NumVGPRsForWavesPerEU: 7
; Occupancy: 16
; WaveLimiterHint : 0
; COMPUTE_PGM_RSRC2:SCRATCH_EN: 0
; COMPUTE_PGM_RSRC2:USER_SGPR: 14
; COMPUTE_PGM_RSRC2:TRAP_HANDLER: 0
; COMPUTE_PGM_RSRC2:TGID_X_EN: 1
; COMPUTE_PGM_RSRC2:TGID_Y_EN: 0
; COMPUTE_PGM_RSRC2:TGID_Z_EN: 1
; COMPUTE_PGM_RSRC2:TIDIG_COMP_CNT: 0
	.section	.text._ZL19rocblas_copy_kernelIiLi256EPdS0_EviT1_lT_lT2_lS2_li,"axG",@progbits,_ZL19rocblas_copy_kernelIiLi256EPdS0_EviT1_lT_lT2_lS2_li,comdat
	.globl	_ZL19rocblas_copy_kernelIiLi256EPdS0_EviT1_lT_lT2_lS2_li ; -- Begin function _ZL19rocblas_copy_kernelIiLi256EPdS0_EviT1_lT_lT2_lS2_li
	.p2align	8
	.type	_ZL19rocblas_copy_kernelIiLi256EPdS0_EviT1_lT_lT2_lS2_li,@function
_ZL19rocblas_copy_kernelIiLi256EPdS0_EviT1_lT_lT2_lS2_li: ; @_ZL19rocblas_copy_kernelIiLi256EPdS0_EviT1_lT_lT2_lS2_li
; %bb.0:
	s_load_b32 s2, s[0:1], 0x0
	v_lshl_or_b32 v0, s14, 8, v0
	v_mov_b32_e32 v1, 0
	s_waitcnt lgkmcnt(0)
	s_ashr_i32 s3, s2, 31
	s_delay_alu instid0(VALU_DEP_1) | instid1(SALU_CYCLE_1)
	v_cmp_gt_i64_e32 vcc_lo, s[2:3], v[0:1]
	s_and_saveexec_b32 s2, vcc_lo
	s_cbranch_execz .LBB5_2
; %bb.1:
	s_clause 0x5
	s_load_b32 s12, s[0:1], 0x18
	s_load_b32 s13, s[0:1], 0x38
	s_load_b64 s[8:9], s[0:1], 0x40
	s_load_b128 s[4:7], s[0:1], 0x20
	s_load_b64 s[10:11], s[0:1], 0x30
	s_load_b128 s[0:3], s[0:1], 0x8
	s_waitcnt lgkmcnt(0)
	v_mad_u64_u32 v[1:2], null, s12, v0, 0
	s_ashr_i32 s12, s12, 31
	s_mul_i32 s9, s15, s9
	s_mul_hi_u32 s16, s15, s8
	s_mul_i32 s8, s15, s8
	s_add_i32 s9, s16, s9
	s_ashr_i32 s14, s13, 31
	s_delay_alu instid0(VALU_DEP_1)
	v_mad_u64_u32 v[3:4], null, s12, v0, v[2:3]
	s_lshl_b64 s[8:9], s[8:9], 3
	s_mul_i32 s5, s15, s5
	s_add_u32 s8, s6, s8
	s_addc_u32 s9, s7, s9
	s_lshl_b64 s[6:7], s[10:11], 3
	s_mul_hi_u32 s16, s15, s4
	s_delay_alu instid0(VALU_DEP_1)
	v_mov_b32_e32 v2, v3
	s_add_u32 s6, s8, s6
	s_mul_i32 s4, s15, s4
	s_addc_u32 s7, s9, s7
	s_add_i32 s5, s16, s5
	v_lshlrev_b64 v[1:2], 3, v[1:2]
	s_lshl_b64 s[4:5], s[4:5], 3
	v_mad_u64_u32 v[3:4], null, s13, v0, 0
	s_add_u32 s4, s0, s4
	s_addc_u32 s5, s1, s5
	s_lshl_b64 s[0:1], s[2:3], 3
	s_delay_alu instid0(SALU_CYCLE_1)
	s_add_u32 s0, s4, s0
	s_addc_u32 s1, s5, s1
	v_add_co_u32 v1, vcc_lo, s0, v1
	v_add_co_ci_u32_e32 v2, vcc_lo, s1, v2, vcc_lo
	v_mad_u64_u32 v[5:6], null, s14, v0, v[4:5]
	global_load_b64 v[1:2], v[1:2], off
	v_mov_b32_e32 v4, v5
	s_delay_alu instid0(VALU_DEP_1) | instskip(NEXT) | instid1(VALU_DEP_1)
	v_lshlrev_b64 v[3:4], 3, v[3:4]
	v_add_co_u32 v3, vcc_lo, s6, v3
	s_delay_alu instid0(VALU_DEP_2)
	v_add_co_ci_u32_e32 v4, vcc_lo, s7, v4, vcc_lo
	s_waitcnt vmcnt(0)
	global_store_b64 v[3:4], v[1:2], off
.LBB5_2:
	s_nop 0
	s_sendmsg sendmsg(MSG_DEALLOC_VGPRS)
	s_endpgm
	.section	.rodata,"a",@progbits
	.p2align	6, 0x0
	.amdhsa_kernel _ZL19rocblas_copy_kernelIiLi256EPdS0_EviT1_lT_lT2_lS2_li
		.amdhsa_group_segment_fixed_size 0
		.amdhsa_private_segment_fixed_size 0
		.amdhsa_kernarg_size 76
		.amdhsa_user_sgpr_count 14
		.amdhsa_user_sgpr_dispatch_ptr 0
		.amdhsa_user_sgpr_queue_ptr 0
		.amdhsa_user_sgpr_kernarg_segment_ptr 1
		.amdhsa_user_sgpr_dispatch_id 0
		.amdhsa_user_sgpr_private_segment_size 0
		.amdhsa_wavefront_size32 1
		.amdhsa_uses_dynamic_stack 0
		.amdhsa_enable_private_segment 0
		.amdhsa_system_sgpr_workgroup_id_x 1
		.amdhsa_system_sgpr_workgroup_id_y 0
		.amdhsa_system_sgpr_workgroup_id_z 1
		.amdhsa_system_sgpr_workgroup_info 0
		.amdhsa_system_vgpr_workitem_id 0
		.amdhsa_next_free_vgpr 7
		.amdhsa_next_free_sgpr 17
		.amdhsa_reserve_vcc 1
		.amdhsa_float_round_mode_32 0
		.amdhsa_float_round_mode_16_64 0
		.amdhsa_float_denorm_mode_32 3
		.amdhsa_float_denorm_mode_16_64 3
		.amdhsa_dx10_clamp 1
		.amdhsa_ieee_mode 1
		.amdhsa_fp16_overflow 0
		.amdhsa_workgroup_processor_mode 1
		.amdhsa_memory_ordered 1
		.amdhsa_forward_progress 0
		.amdhsa_shared_vgpr_count 0
		.amdhsa_exception_fp_ieee_invalid_op 0
		.amdhsa_exception_fp_denorm_src 0
		.amdhsa_exception_fp_ieee_div_zero 0
		.amdhsa_exception_fp_ieee_overflow 0
		.amdhsa_exception_fp_ieee_underflow 0
		.amdhsa_exception_fp_ieee_inexact 0
		.amdhsa_exception_int_div_zero 0
	.end_amdhsa_kernel
	.section	.text._ZL19rocblas_copy_kernelIiLi256EPdS0_EviT1_lT_lT2_lS2_li,"axG",@progbits,_ZL19rocblas_copy_kernelIiLi256EPdS0_EviT1_lT_lT2_lS2_li,comdat
.Lfunc_end5:
	.size	_ZL19rocblas_copy_kernelIiLi256EPdS0_EviT1_lT_lT2_lS2_li, .Lfunc_end5-_ZL19rocblas_copy_kernelIiLi256EPdS0_EviT1_lT_lT2_lS2_li
                                        ; -- End function
	.section	.AMDGPU.csdata,"",@progbits
; Kernel info:
; codeLenInByte = 320
; NumSgprs: 19
; NumVgprs: 7
; ScratchSize: 0
; MemoryBound: 0
; FloatMode: 240
; IeeeMode: 1
; LDSByteSize: 0 bytes/workgroup (compile time only)
; SGPRBlocks: 2
; VGPRBlocks: 0
; NumSGPRsForWavesPerEU: 19
; NumVGPRsForWavesPerEU: 7
; Occupancy: 16
; WaveLimiterHint : 0
; COMPUTE_PGM_RSRC2:SCRATCH_EN: 0
; COMPUTE_PGM_RSRC2:USER_SGPR: 14
; COMPUTE_PGM_RSRC2:TRAP_HANDLER: 0
; COMPUTE_PGM_RSRC2:TGID_X_EN: 1
; COMPUTE_PGM_RSRC2:TGID_Y_EN: 0
; COMPUTE_PGM_RSRC2:TGID_Z_EN: 1
; COMPUTE_PGM_RSRC2:TIDIG_COMP_CNT: 0
	.section	.text._ZL20rocblas_tbmvx_kernelILi64ELi16EPKdPdEv18rocblas_operation_bbiiT1_lllS4_T2_llli,"axG",@progbits,_ZL20rocblas_tbmvx_kernelILi64ELi16EPKdPdEv18rocblas_operation_bbiiT1_lllS4_T2_llli,comdat
	.globl	_ZL20rocblas_tbmvx_kernelILi64ELi16EPKdPdEv18rocblas_operation_bbiiT1_lllS4_T2_llli ; -- Begin function _ZL20rocblas_tbmvx_kernelILi64ELi16EPKdPdEv18rocblas_operation_bbiiT1_lllS4_T2_llli
	.p2align	8
	.type	_ZL20rocblas_tbmvx_kernelILi64ELi16EPKdPdEv18rocblas_operation_bbiiT1_lllS4_T2_llli,@function
_ZL20rocblas_tbmvx_kernelILi64ELi16EPKdPdEv18rocblas_operation_bbiiT1_lllS4_T2_llli: ; @_ZL20rocblas_tbmvx_kernelILi64ELi16EPKdPdEv18rocblas_operation_bbiiT1_lllS4_T2_llli
; %bb.0:
	s_load_b64 s[2:3], s[0:1], 0x6c
	s_waitcnt lgkmcnt(0)
	s_lshr_b32 s4, s2, 16
	s_and_b32 s2, s2, 0xffff
	s_and_b32 s3, s3, 0xffff
	s_mul_i32 s4, s4, s2
	s_delay_alu instid0(SALU_CYCLE_1) | instskip(NEXT) | instid1(SALU_CYCLE_1)
	s_mul_i32 s4, s4, s3
	s_cmpk_lg_i32 s4, 0x400
	s_cbranch_scc1 .LBB6_60
; %bb.1:
	s_clause 0x2
	s_load_b64 s[10:11], s[0:1], 0x0
	s_load_b512 s[16:31], s[0:1], 0x10
	s_load_b128 s[4:7], s[0:1], 0x4
	v_and_b32_e32 v1, 0x3ff, v0
	v_bfe_u32 v0, v0, 10, 10
	s_delay_alu instid0(VALU_DEP_1) | instskip(SKIP_1) | instid1(VALU_DEP_1)
	v_mad_u32_u24 v13, v0, s2, v1
	s_mov_b32 s2, -1
	v_and_b32_e32 v14, 63, v13
	v_lshrrev_b32_e32 v0, 6, v13
	s_waitcnt lgkmcnt(0)
	s_bitcmp1_b32 s11, 0
	s_mul_i32 s3, s15, s23
	s_mul_hi_u32 s9, s15, s22
	s_cselect_b32 s7, -1, 0
	s_bitcmp1_b32 s4, 8
	s_mul_hi_u32 s11, s5, s15
	s_cselect_b32 s12, -1, 0
	s_add_i32 s9, s9, s3
	s_ashr_i32 s3, s5, 31
	s_lshl_b32 s4, s14, 6
	s_mul_i32 s3, s3, s15
	v_or_b32_e32 v4, s4, v14
	s_add_i32 s11, s11, s3
	s_mul_i32 s8, s15, s22
	s_cmpk_lg_i32 s10, 0x6f
	s_mul_i32 s10, s5, s15
	s_cbranch_scc0 .LBB6_4
; %bb.2:
	v_dual_mov_b32 v1, 0 :: v_dual_mov_b32 v2, 0
	v_cmp_ge_i32_e64 s2, s6, v0
	v_mov_b32_e32 v3, 0
	s_delay_alu instid0(VALU_DEP_3) | instskip(NEXT) | instid1(VALU_DEP_3)
	v_cmp_gt_i64_e32 vcc_lo, s[20:21], v[0:1]
	s_and_b32 s2, s2, vcc_lo
	s_delay_alu instid0(SALU_CYCLE_1)
	s_and_saveexec_b32 s13, s2
	s_cbranch_execz .LBB6_32
; %bb.3:
	v_ashrrev_i32_e32 v5, 31, v4
	v_mul_lo_u32 v6, v4, s21
	v_mad_u64_u32 v[2:3], null, v4, s20, 0
	s_lshl_b64 s[34:35], s[8:9], 3
	s_delay_alu instid0(VALU_DEP_3)
	v_mul_lo_u32 v7, v5, s20
	s_xor_b32 s14, s7, -1
	s_xor_b32 s22, s12, -1
	s_add_u32 s3, s16, s34
	s_addc_u32 s23, s17, s35
	s_lshl_b64 s[34:35], s[18:19], 3
	v_cmp_gt_i32_e64 s2, s5, v4
	s_add_u32 s3, s3, s34
	v_add3_u32 v3, v3, v6, v7
	v_lshlrev_b64 v[7:8], 3, v[4:5]
	s_addc_u32 s36, s23, s35
	s_lshl_b64 s[34:35], s[10:11], 3
	v_xad_u32 v15, v4, -1, s5
	v_lshlrev_b64 v[2:3], 3, v[2:3]
	s_add_u32 s23, s24, s34
	s_addc_u32 s33, s25, s35
	v_sub_nc_u32_e32 v16, s6, v4
	s_mov_b32 s34, 0
	v_mov_b32_e32 v10, v1
	v_add_co_u32 v5, vcc_lo, s3, v2
	v_add_co_ci_u32_e32 v6, vcc_lo, s36, v3, vcc_lo
	v_add_co_u32 v7, vcc_lo, s23, v7
	v_dual_mov_b32 v2, 0 :: v_dual_mov_b32 v9, v0
	v_mov_b32_e32 v3, 0
	v_add_co_ci_u32_e32 v8, vcc_lo, s33, v8, vcc_lo
	s_branch .LBB6_10
.LBB6_4:
                                        ; implicit-def: $vgpr2_vgpr3
	s_and_not1_b32 vcc_lo, exec_lo, s2
	s_cbranch_vccz .LBB6_33
	s_branch .LBB6_58
.LBB6_5:                                ;   in Loop: Header=BB6_10 Depth=1
	s_delay_alu instid0(VALU_DEP_1)
	v_dual_mov_b32 v2, v10 :: v_dual_mov_b32 v3, v11
.LBB6_6:                                ;   in Loop: Header=BB6_10 Depth=1
	s_or_b32 exec_lo, exec_lo, s36
.LBB6_7:                                ;   in Loop: Header=BB6_10 Depth=1
	s_delay_alu instid0(SALU_CYCLE_1) | instskip(NEXT) | instid1(VALU_DEP_1)
	s_or_b32 exec_lo, exec_lo, s3
	v_dual_mov_b32 v12, v3 :: v_dual_mov_b32 v11, v2
.LBB6_8:                                ;   in Loop: Header=BB6_10 Depth=1
	s_delay_alu instid0(VALU_DEP_1)
	v_dual_mov_b32 v2, v11 :: v_dual_mov_b32 v3, v12
.LBB6_9:                                ;   in Loop: Header=BB6_10 Depth=1
	s_or_b32 exec_lo, exec_lo, s35
	v_add_nc_u32_e32 v9, 16, v9
	s_delay_alu instid0(VALU_DEP_1) | instskip(SKIP_1) | instid1(VALU_DEP_2)
	v_ashrrev_i32_e32 v10, 31, v9
	v_cmp_lt_i32_e64 s3, s6, v9
	v_cmp_le_i64_e32 vcc_lo, s[20:21], v[9:10]
	s_delay_alu instid0(VALU_DEP_2) | instskip(NEXT) | instid1(SALU_CYCLE_1)
	s_or_b32 s3, s3, vcc_lo
	s_and_b32 s3, exec_lo, s3
	s_delay_alu instid0(SALU_CYCLE_1) | instskip(NEXT) | instid1(SALU_CYCLE_1)
	s_or_b32 s34, s3, s34
	s_and_not1_b32 exec_lo, exec_lo, s34
	s_cbranch_execz .LBB6_31
.LBB6_10:                               ; =>This Inner Loop Header: Depth=1
	s_and_saveexec_b32 s35, s2
	s_cbranch_execz .LBB6_9
; %bb.11:                               ;   in Loop: Header=BB6_10 Depth=1
	s_and_b32 vcc_lo, exec_lo, s14
	s_cbranch_vccz .LBB6_16
; %bb.12:                               ;   in Loop: Header=BB6_10 Depth=1
	v_cmp_gt_i64_e32 vcc_lo, 1, v[9:10]
	v_cmp_lt_i32_e64 s3, v15, v9
                                        ; implicit-def: $vgpr11_vgpr12
	s_delay_alu instid0(VALU_DEP_1) | instskip(NEXT) | instid1(SALU_CYCLE_1)
	s_or_b32 s3, vcc_lo, s3
	s_and_saveexec_b32 s36, s3
	s_delay_alu instid0(SALU_CYCLE_1)
	s_xor_b32 s3, exec_lo, s36
	s_cbranch_execz .LBB6_20
; %bb.13:                               ;   in Loop: Header=BB6_10 Depth=1
	v_dual_mov_b32 v12, v3 :: v_dual_mov_b32 v11, v2
	s_mov_b32 s36, exec_lo
	v_cmpx_eq_u64_e32 0, v[9:10]
	s_cbranch_execz .LBB6_19
; %bb.14:                               ;   in Loop: Header=BB6_10 Depth=1
	s_and_b32 vcc_lo, exec_lo, s22
	s_cbranch_vccz .LBB6_17
; %bb.15:                               ;   in Loop: Header=BB6_10 Depth=1
	global_load_b64 v[11:12], v[5:6], off
	global_load_b64 v[17:18], v[7:8], off
	s_waitcnt vmcnt(0)
	v_fma_f64 v[11:12], v[11:12], v[17:18], v[2:3]
	s_cbranch_execz .LBB6_18
	s_branch .LBB6_19
.LBB6_16:                               ;   in Loop: Header=BB6_10 Depth=1
                                        ; implicit-def: $vgpr11_vgpr12
	s_branch .LBB6_23
.LBB6_17:                               ;   in Loop: Header=BB6_10 Depth=1
                                        ; implicit-def: $vgpr11_vgpr12
.LBB6_18:                               ;   in Loop: Header=BB6_10 Depth=1
	global_load_b64 v[11:12], v[7:8], off
	s_waitcnt vmcnt(0)
	v_add_f64 v[11:12], v[2:3], v[11:12]
.LBB6_19:                               ;   in Loop: Header=BB6_10 Depth=1
	s_or_b32 exec_lo, exec_lo, s36
.LBB6_20:                               ;   in Loop: Header=BB6_10 Depth=1
	s_and_not1_saveexec_b32 s3, s3
	s_cbranch_execz .LBB6_22
; %bb.21:                               ;   in Loop: Header=BB6_10 Depth=1
	v_add_nc_u32_e32 v11, v4, v9
	v_lshlrev_b64 v[17:18], 3, v[9:10]
	s_delay_alu instid0(VALU_DEP_2) | instskip(NEXT) | instid1(VALU_DEP_2)
	v_ashrrev_i32_e32 v12, 31, v11
	v_add_co_u32 v17, vcc_lo, v5, v17
	s_delay_alu instid0(VALU_DEP_3) | instskip(NEXT) | instid1(VALU_DEP_3)
	v_add_co_ci_u32_e32 v18, vcc_lo, v6, v18, vcc_lo
	v_lshlrev_b64 v[11:12], 3, v[11:12]
	s_delay_alu instid0(VALU_DEP_1) | instskip(NEXT) | instid1(VALU_DEP_2)
	v_add_co_u32 v11, vcc_lo, s23, v11
	v_add_co_ci_u32_e32 v12, vcc_lo, s33, v12, vcc_lo
	global_load_b64 v[17:18], v[17:18], off
	global_load_b64 v[11:12], v[11:12], off
	s_waitcnt vmcnt(0)
	v_fma_f64 v[11:12], v[17:18], v[11:12], v[2:3]
.LBB6_22:                               ;   in Loop: Header=BB6_10 Depth=1
	s_or_b32 exec_lo, exec_lo, s3
	s_cbranch_execnz .LBB6_8
.LBB6_23:                               ;   in Loop: Header=BB6_10 Depth=1
	v_cmp_gt_i32_e32 vcc_lo, s6, v9
	v_cmp_ge_i32_e64 s3, v9, v16
	s_delay_alu instid0(VALU_DEP_1) | instskip(NEXT) | instid1(SALU_CYCLE_1)
	s_and_b32 s3, vcc_lo, s3
	s_and_saveexec_b32 s36, s3
	s_delay_alu instid0(SALU_CYCLE_1)
	s_xor_b32 s3, exec_lo, s36
	s_cbranch_execz .LBB6_25
; %bb.24:                               ;   in Loop: Header=BB6_10 Depth=1
	v_sub_nc_u32_e32 v11, v9, v16
	v_lshlrev_b64 v[17:18], 3, v[9:10]
	s_delay_alu instid0(VALU_DEP_2) | instskip(NEXT) | instid1(VALU_DEP_2)
	v_ashrrev_i32_e32 v12, 31, v11
	v_add_co_u32 v17, vcc_lo, v5, v17
	s_delay_alu instid0(VALU_DEP_3) | instskip(NEXT) | instid1(VALU_DEP_3)
	v_add_co_ci_u32_e32 v18, vcc_lo, v6, v18, vcc_lo
	v_lshlrev_b64 v[11:12], 3, v[11:12]
	s_delay_alu instid0(VALU_DEP_1) | instskip(NEXT) | instid1(VALU_DEP_2)
	v_add_co_u32 v11, vcc_lo, s23, v11
	v_add_co_ci_u32_e32 v12, vcc_lo, s33, v12, vcc_lo
	global_load_b64 v[17:18], v[17:18], off
	global_load_b64 v[11:12], v[11:12], off
	s_waitcnt vmcnt(0)
	v_fma_f64 v[2:3], v[17:18], v[11:12], v[2:3]
.LBB6_25:                               ;   in Loop: Header=BB6_10 Depth=1
	s_and_not1_saveexec_b32 s3, s3
	s_cbranch_execz .LBB6_7
; %bb.26:                               ;   in Loop: Header=BB6_10 Depth=1
	s_mov_b32 s36, exec_lo
	v_cmpx_eq_u32_e64 s6, v9
	s_cbranch_execz .LBB6_6
; %bb.27:                               ;   in Loop: Header=BB6_10 Depth=1
	s_and_b32 vcc_lo, exec_lo, s22
	s_cbranch_vccz .LBB6_29
; %bb.28:                               ;   in Loop: Header=BB6_10 Depth=1
	v_lshlrev_b64 v[10:11], 3, v[9:10]
	s_delay_alu instid0(VALU_DEP_1) | instskip(NEXT) | instid1(VALU_DEP_2)
	v_add_co_u32 v10, vcc_lo, v5, v10
	v_add_co_ci_u32_e32 v11, vcc_lo, v6, v11, vcc_lo
	global_load_b64 v[10:11], v[10:11], off
	global_load_b64 v[17:18], v[7:8], off
	s_waitcnt vmcnt(0)
	v_fma_f64 v[10:11], v[10:11], v[17:18], v[2:3]
	s_cbranch_execnz .LBB6_5
	s_branch .LBB6_30
.LBB6_29:                               ;   in Loop: Header=BB6_10 Depth=1
                                        ; implicit-def: $vgpr10_vgpr11
.LBB6_30:                               ;   in Loop: Header=BB6_10 Depth=1
	global_load_b64 v[10:11], v[7:8], off
	s_waitcnt vmcnt(0)
	v_add_f64 v[10:11], v[2:3], v[10:11]
	s_branch .LBB6_5
.LBB6_31:
	s_or_b32 exec_lo, exec_lo, s34
.LBB6_32:
	s_delay_alu instid0(SALU_CYCLE_1)
	s_or_b32 exec_lo, exec_lo, s13
	s_cbranch_execnz .LBB6_58
.LBB6_33:
	v_mov_b32_e32 v2, 0
	v_mov_b32_e32 v3, 0
	s_mov_b32 s13, exec_lo
	v_cmpx_gt_i32_e64 s5, v0
	s_cbranch_execz .LBB6_57
; %bb.34:
	s_and_b32 s2, s7, exec_lo
	v_mad_u64_u32 v[1:2], null, s20, v0, 0
	s_cselect_b32 s3, s6, 0
	s_and_b32 s2, s7, s12
	s_xor_b32 s12, s12, -1
	s_xor_b32 s14, s2, -1
	s_cmp_lg_u32 s6, 0
	v_mov_b32_e32 v5, 0
	s_cselect_b32 s2, -1, 0
	s_lshl_b64 s[10:11], s[10:11], 3
	s_and_b32 s7, s2, s7
	v_cmp_gt_i32_e64 s2, s5, v4
	v_mad_u64_u32 v[3:4], null, s21, v0, v[2:3]
	s_or_b32 s7, s7, s12
	v_lshlrev_b32_e32 v4, 3, v0
	s_xor_b32 s12, s7, -1
	s_ashr_i32 s7, s6, 31
	s_add_u32 s10, s24, s10
	s_addc_u32 s11, s25, s11
	s_delay_alu instid0(VALU_DEP_2) | instskip(SKIP_1) | instid1(VALU_DEP_1)
	v_mov_b32_e32 v2, v3
	v_add_co_u32 v6, s10, s10, v4
	v_add_co_ci_u32_e64 v7, null, s11, 0, s10
	s_delay_alu instid0(VALU_DEP_3)
	v_lshlrev_b64 v[1:2], 3, v[1:2]
	s_lshl_b64 s[10:11], s[18:19], 3
	s_lshl_b64 s[8:9], s[8:9], 3
	s_add_u32 s10, s16, s10
	s_addc_u32 s11, s17, s11
	v_add3_u32 v3, s3, s4, v14
	s_add_u32 s8, s10, s8
	s_addc_u32 s9, s11, s9
	v_add_co_u32 v8, vcc_lo, s8, v1
	v_add_co_ci_u32_e32 v9, vcc_lo, s9, v2, vcc_lo
	v_sub_nc_u32_e32 v4, v3, v0
	v_mov_b32_e32 v2, 0
	v_mov_b32_e32 v3, 0
	s_mov_b32 s16, 0
	s_lshl_b64 s[8:9], s[20:21], 7
	s_lshl_b64 s[10:11], s[6:7], 3
	s_branch .LBB6_37
.LBB6_35:                               ;   in Loop: Header=BB6_37 Depth=1
	s_or_b32 exec_lo, exec_lo, s3
.LBB6_36:                               ;   in Loop: Header=BB6_37 Depth=1
	s_delay_alu instid0(SALU_CYCLE_1) | instskip(SKIP_3) | instid1(VALU_DEP_3)
	s_or_b32 exec_lo, exec_lo, s7
	v_add_nc_u32_e32 v0, 16, v0
	v_add_co_u32 v6, vcc_lo, 0x80, v6
	v_add_co_ci_u32_e32 v7, vcc_lo, 0, v7, vcc_lo
	v_cmp_le_i32_e32 vcc_lo, s5, v0
	v_add_co_u32 v8, s3, v8, s8
	s_delay_alu instid0(VALU_DEP_1) | instskip(SKIP_2) | instid1(SALU_CYCLE_1)
	v_add_co_ci_u32_e64 v9, s3, s9, v9, s3
	v_add_nc_u32_e32 v4, -16, v4
	s_or_b32 s16, vcc_lo, s16
	s_and_not1_b32 exec_lo, exec_lo, s16
	s_cbranch_execz .LBB6_56
.LBB6_37:                               ; =>This Inner Loop Header: Depth=1
	s_and_saveexec_b32 s7, s2
	s_cbranch_execz .LBB6_36
; %bb.38:                               ;   in Loop: Header=BB6_37 Depth=1
	v_cmp_le_i32_e32 vcc_lo, s6, v4
	v_cmp_gt_i32_e64 s3, 1, v4
	s_delay_alu instid0(VALU_DEP_1) | instskip(NEXT) | instid1(SALU_CYCLE_1)
	s_or_b32 s3, vcc_lo, s3
	s_and_saveexec_b32 s17, s3
	s_delay_alu instid0(SALU_CYCLE_1)
	s_xor_b32 s3, exec_lo, s17
	s_cbranch_execz .LBB6_52
; %bb.39:                               ;   in Loop: Header=BB6_37 Depth=1
	s_mov_b32 s17, exec_lo
	v_cmpx_ne_u32_e32 0, v4
	s_xor_b32 s17, exec_lo, s17
	s_cbranch_execz .LBB6_46
; %bb.40:                               ;   in Loop: Header=BB6_37 Depth=1
	s_mov_b32 s18, exec_lo
	v_cmpx_eq_u32_e64 s6, v4
	s_cbranch_execz .LBB6_45
; %bb.41:                               ;   in Loop: Header=BB6_37 Depth=1
	s_and_b32 vcc_lo, exec_lo, s14
	s_cbranch_vccz .LBB6_55
; %bb.42:                               ;   in Loop: Header=BB6_37 Depth=1
	v_add_co_u32 v10, vcc_lo, v8, s10
	v_add_co_ci_u32_e32 v11, vcc_lo, s11, v9, vcc_lo
	global_load_b64 v[10:11], v[10:11], off
	global_load_b64 v[14:15], v[6:7], off
	s_waitcnt vmcnt(0)
	v_fma_f64 v[10:11], v[10:11], v[14:15], v[2:3]
	s_cbranch_execnz .LBB6_44
.LBB6_43:                               ;   in Loop: Header=BB6_37 Depth=1
	global_load_b64 v[10:11], v[6:7], off
	s_waitcnt vmcnt(0)
	v_add_f64 v[10:11], v[2:3], v[10:11]
.LBB6_44:                               ;   in Loop: Header=BB6_37 Depth=1
	s_delay_alu instid0(VALU_DEP_1)
	v_dual_mov_b32 v2, v10 :: v_dual_mov_b32 v3, v11
.LBB6_45:                               ;   in Loop: Header=BB6_37 Depth=1
	s_or_b32 exec_lo, exec_lo, s18
.LBB6_46:                               ;   in Loop: Header=BB6_37 Depth=1
	s_and_not1_saveexec_b32 s17, s17
	s_cbranch_execz .LBB6_51
; %bb.47:                               ;   in Loop: Header=BB6_37 Depth=1
	s_and_not1_b32 vcc_lo, exec_lo, s12
	s_cbranch_vccnz .LBB6_54
; %bb.48:                               ;   in Loop: Header=BB6_37 Depth=1
	global_load_b64 v[10:11], v[6:7], off
	s_waitcnt vmcnt(0)
	v_add_f64 v[10:11], v[2:3], v[10:11]
	s_cbranch_execnz .LBB6_50
.LBB6_49:                               ;   in Loop: Header=BB6_37 Depth=1
	global_load_b64 v[10:11], v[8:9], off
	global_load_b64 v[14:15], v[6:7], off
	s_waitcnt vmcnt(0)
	v_fma_f64 v[10:11], v[10:11], v[14:15], v[2:3]
.LBB6_50:                               ;   in Loop: Header=BB6_37 Depth=1
	s_delay_alu instid0(VALU_DEP_1)
	v_dual_mov_b32 v2, v10 :: v_dual_mov_b32 v3, v11
.LBB6_51:                               ;   in Loop: Header=BB6_37 Depth=1
	s_or_b32 exec_lo, exec_lo, s17
.LBB6_52:                               ;   in Loop: Header=BB6_37 Depth=1
	s_and_not1_saveexec_b32 s3, s3
	s_cbranch_execz .LBB6_35
; %bb.53:                               ;   in Loop: Header=BB6_37 Depth=1
	v_lshlrev_b64 v[10:11], 3, v[4:5]
	s_delay_alu instid0(VALU_DEP_1) | instskip(NEXT) | instid1(VALU_DEP_2)
	v_add_co_u32 v10, vcc_lo, v8, v10
	v_add_co_ci_u32_e32 v11, vcc_lo, v9, v11, vcc_lo
	global_load_b64 v[10:11], v[10:11], off
	global_load_b64 v[14:15], v[6:7], off
	s_waitcnt vmcnt(0)
	v_fma_f64 v[2:3], v[10:11], v[14:15], v[2:3]
	s_branch .LBB6_35
.LBB6_54:                               ;   in Loop: Header=BB6_37 Depth=1
                                        ; implicit-def: $vgpr10_vgpr11
	s_branch .LBB6_49
.LBB6_55:                               ;   in Loop: Header=BB6_37 Depth=1
                                        ; implicit-def: $vgpr10_vgpr11
	s_branch .LBB6_43
.LBB6_56:
	s_or_b32 exec_lo, exec_lo, s16
.LBB6_57:
	s_delay_alu instid0(SALU_CYCLE_1)
	s_or_b32 exec_lo, exec_lo, s13
.LBB6_58:
	v_add_nc_u32_e32 v1, s4, v13
	v_cmp_gt_u32_e32 vcc_lo, 64, v13
	v_lshlrev_b32_e32 v0, 3, v13
	s_delay_alu instid0(VALU_DEP_3)
	v_cmp_gt_i32_e64 s2, s5, v1
	ds_store_b64 v0, v[2:3]
	s_waitcnt lgkmcnt(0)
	s_barrier
	s_and_b32 s2, vcc_lo, s2
	buffer_gl0_inv
	s_and_saveexec_b32 s3, s2
	s_cbranch_execz .LBB6_60
; %bb.59:
	ds_load_2addr_stride64_b64 v[2:5], v0 offset1:1
	ds_load_2addr_stride64_b64 v[6:9], v0 offset0:2 offset1:3
	s_load_b64 s[0:1], s[0:1], 0x50
	s_waitcnt lgkmcnt(0)
	v_add_f64 v[2:3], v[2:3], v[4:5]
	s_mul_i32 s1, s15, s1
	s_mul_hi_u32 s2, s15, s0
	s_mul_i32 s0, s15, s0
	s_add_i32 s1, s2, s1
	s_delay_alu instid0(SALU_CYCLE_1) | instskip(NEXT) | instid1(SALU_CYCLE_1)
	s_lshl_b64 s[0:1], s[0:1], 3
	s_add_u32 s2, s26, s0
	s_addc_u32 s3, s27, s1
	s_lshl_b64 s[0:1], s[28:29], 3
	s_delay_alu instid0(SALU_CYCLE_1) | instskip(SKIP_1) | instid1(VALU_DEP_1)
	s_add_u32 s0, s2, s0
	s_addc_u32 s1, s3, s1
	v_add_f64 v[2:3], v[6:7], v[2:3]
	s_delay_alu instid0(VALU_DEP_1) | instskip(SKIP_4) | instid1(VALU_DEP_1)
	v_add_f64 v[10:11], v[8:9], v[2:3]
	ds_load_2addr_stride64_b64 v[2:5], v0 offset0:4 offset1:5
	ds_load_2addr_stride64_b64 v[6:9], v0 offset0:6 offset1:7
	s_waitcnt lgkmcnt(1)
	v_add_f64 v[2:3], v[2:3], v[10:11]
	v_add_f64 v[2:3], v[4:5], v[2:3]
	s_waitcnt lgkmcnt(0)
	s_delay_alu instid0(VALU_DEP_1) | instskip(NEXT) | instid1(VALU_DEP_1)
	v_add_f64 v[2:3], v[6:7], v[2:3]
	v_add_f64 v[10:11], v[8:9], v[2:3]
	ds_load_2addr_stride64_b64 v[2:5], v0 offset0:8 offset1:9
	ds_load_2addr_stride64_b64 v[6:9], v0 offset0:10 offset1:11
	s_waitcnt lgkmcnt(1)
	v_add_f64 v[2:3], v[2:3], v[10:11]
	s_delay_alu instid0(VALU_DEP_1) | instskip(SKIP_1) | instid1(VALU_DEP_1)
	v_add_f64 v[2:3], v[4:5], v[2:3]
	s_waitcnt lgkmcnt(0)
	v_add_f64 v[2:3], v[6:7], v[2:3]
	s_delay_alu instid0(VALU_DEP_1) | instskip(SKIP_4) | instid1(VALU_DEP_1)
	v_add_f64 v[10:11], v[8:9], v[2:3]
	ds_load_2addr_stride64_b64 v[2:5], v0 offset0:12 offset1:13
	ds_load_2addr_stride64_b64 v[6:9], v0 offset0:14 offset1:15
	s_waitcnt lgkmcnt(1)
	v_add_f64 v[2:3], v[2:3], v[10:11]
	v_add_f64 v[2:3], v[4:5], v[2:3]
	v_mad_u64_u32 v[4:5], null, v1, s30, 0
	s_waitcnt lgkmcnt(0)
	s_delay_alu instid0(VALU_DEP_2) | instskip(SKIP_2) | instid1(VALU_DEP_2)
	v_add_f64 v[2:3], v[6:7], v[2:3]
	v_ashrrev_i32_e32 v6, 31, v1
	v_mul_lo_u32 v7, v1, s31
	v_mul_lo_u32 v1, v6, s30
	s_delay_alu instid0(VALU_DEP_1) | instskip(NEXT) | instid1(VALU_DEP_1)
	v_add3_u32 v5, v5, v7, v1
	v_lshlrev_b64 v[4:5], 3, v[4:5]
	s_delay_alu instid0(VALU_DEP_1) | instskip(NEXT) | instid1(VALU_DEP_2)
	v_add_co_u32 v4, vcc_lo, s0, v4
	v_add_co_ci_u32_e32 v5, vcc_lo, s1, v5, vcc_lo
	v_add_f64 v[2:3], v[8:9], v[2:3]
	ds_store_b64 v0, v[2:3]
	global_store_b64 v[4:5], v[2:3], off
.LBB6_60:
	s_nop 0
	s_sendmsg sendmsg(MSG_DEALLOC_VGPRS)
	s_endpgm
	.section	.rodata,"a",@progbits
	.p2align	6, 0x0
	.amdhsa_kernel _ZL20rocblas_tbmvx_kernelILi64ELi16EPKdPdEv18rocblas_operation_bbiiT1_lllS4_T2_llli
		.amdhsa_group_segment_fixed_size 8192
		.amdhsa_private_segment_fixed_size 0
		.amdhsa_kernarg_size 352
		.amdhsa_user_sgpr_count 14
		.amdhsa_user_sgpr_dispatch_ptr 0
		.amdhsa_user_sgpr_queue_ptr 0
		.amdhsa_user_sgpr_kernarg_segment_ptr 1
		.amdhsa_user_sgpr_dispatch_id 0
		.amdhsa_user_sgpr_private_segment_size 0
		.amdhsa_wavefront_size32 1
		.amdhsa_uses_dynamic_stack 0
		.amdhsa_enable_private_segment 0
		.amdhsa_system_sgpr_workgroup_id_x 1
		.amdhsa_system_sgpr_workgroup_id_y 0
		.amdhsa_system_sgpr_workgroup_id_z 1
		.amdhsa_system_sgpr_workgroup_info 0
		.amdhsa_system_vgpr_workitem_id 1
		.amdhsa_next_free_vgpr 19
		.amdhsa_next_free_sgpr 37
		.amdhsa_reserve_vcc 1
		.amdhsa_float_round_mode_32 0
		.amdhsa_float_round_mode_16_64 0
		.amdhsa_float_denorm_mode_32 3
		.amdhsa_float_denorm_mode_16_64 3
		.amdhsa_dx10_clamp 1
		.amdhsa_ieee_mode 1
		.amdhsa_fp16_overflow 0
		.amdhsa_workgroup_processor_mode 1
		.amdhsa_memory_ordered 1
		.amdhsa_forward_progress 0
		.amdhsa_shared_vgpr_count 0
		.amdhsa_exception_fp_ieee_invalid_op 0
		.amdhsa_exception_fp_denorm_src 0
		.amdhsa_exception_fp_ieee_div_zero 0
		.amdhsa_exception_fp_ieee_overflow 0
		.amdhsa_exception_fp_ieee_underflow 0
		.amdhsa_exception_fp_ieee_inexact 0
		.amdhsa_exception_int_div_zero 0
	.end_amdhsa_kernel
	.section	.text._ZL20rocblas_tbmvx_kernelILi64ELi16EPKdPdEv18rocblas_operation_bbiiT1_lllS4_T2_llli,"axG",@progbits,_ZL20rocblas_tbmvx_kernelILi64ELi16EPKdPdEv18rocblas_operation_bbiiT1_lllS4_T2_llli,comdat
.Lfunc_end6:
	.size	_ZL20rocblas_tbmvx_kernelILi64ELi16EPKdPdEv18rocblas_operation_bbiiT1_lllS4_T2_llli, .Lfunc_end6-_ZL20rocblas_tbmvx_kernelILi64ELi16EPKdPdEv18rocblas_operation_bbiiT1_lllS4_T2_llli
                                        ; -- End function
	.section	.AMDGPU.csdata,"",@progbits
; Kernel info:
; codeLenInByte = 2084
; NumSgprs: 39
; NumVgprs: 19
; ScratchSize: 0
; MemoryBound: 1
; FloatMode: 240
; IeeeMode: 1
; LDSByteSize: 8192 bytes/workgroup (compile time only)
; SGPRBlocks: 4
; VGPRBlocks: 2
; NumSGPRsForWavesPerEU: 39
; NumVGPRsForWavesPerEU: 19
; Occupancy: 16
; WaveLimiterHint : 0
; COMPUTE_PGM_RSRC2:SCRATCH_EN: 0
; COMPUTE_PGM_RSRC2:USER_SGPR: 14
; COMPUTE_PGM_RSRC2:TRAP_HANDLER: 0
; COMPUTE_PGM_RSRC2:TGID_X_EN: 1
; COMPUTE_PGM_RSRC2:TGID_Y_EN: 0
; COMPUTE_PGM_RSRC2:TGID_Z_EN: 1
; COMPUTE_PGM_RSRC2:TIDIG_COMP_CNT: 1
	.section	.text._ZL19rocblas_copy_kernelIlLi256EP19rocblas_complex_numIfES2_EviT1_lT_lT2_lS4_li,"axG",@progbits,_ZL19rocblas_copy_kernelIlLi256EP19rocblas_complex_numIfES2_EviT1_lT_lT2_lS4_li,comdat
	.globl	_ZL19rocblas_copy_kernelIlLi256EP19rocblas_complex_numIfES2_EviT1_lT_lT2_lS4_li ; -- Begin function _ZL19rocblas_copy_kernelIlLi256EP19rocblas_complex_numIfES2_EviT1_lT_lT2_lS4_li
	.p2align	8
	.type	_ZL19rocblas_copy_kernelIlLi256EP19rocblas_complex_numIfES2_EviT1_lT_lT2_lS4_li,@function
_ZL19rocblas_copy_kernelIlLi256EP19rocblas_complex_numIfES2_EviT1_lT_lT2_lS4_li: ; @_ZL19rocblas_copy_kernelIlLi256EP19rocblas_complex_numIfES2_EviT1_lT_lT2_lS4_li
; %bb.0:
	s_load_b32 s2, s[0:1], 0x0
	v_lshl_or_b32 v0, s14, 8, v0
	v_mov_b32_e32 v1, 0
	s_waitcnt lgkmcnt(0)
	s_ashr_i32 s3, s2, 31
	s_delay_alu instid0(VALU_DEP_1) | instid1(SALU_CYCLE_1)
	v_cmp_gt_i64_e32 vcc_lo, s[2:3], v[0:1]
	s_and_saveexec_b32 s2, vcc_lo
	s_cbranch_execz .LBB7_2
; %bb.1:
	s_load_b512 s[16:31], s[0:1], 0x8
	s_waitcnt lgkmcnt(0)
	v_mad_u64_u32 v[1:2], null, v0, s20, 0
	s_mul_i32 s1, s15, s31
	s_mul_hi_u32 s2, s15, s30
	s_mul_i32 s0, s15, s30
	s_add_i32 s1, s2, s1
	s_mul_i32 s3, s15, s23
	s_lshl_b64 s[0:1], s[0:1], 3
	s_delay_alu instid0(VALU_DEP_1)
	v_mad_u64_u32 v[3:4], null, v0, s21, v[2:3]
	s_add_u32 s5, s24, s0
	s_addc_u32 s6, s25, s1
	s_lshl_b64 s[0:1], s[26:27], 3
	s_mul_hi_u32 s4, s15, s22
	s_add_u32 s5, s5, s0
	s_mul_i32 s2, s15, s22
	s_delay_alu instid0(VALU_DEP_1)
	v_mov_b32_e32 v2, v3
	s_addc_u32 s6, s6, s1
	s_add_i32 s3, s4, s3
	v_mad_u64_u32 v[3:4], null, v0, s28, 0
	s_lshl_b64 s[0:1], s[2:3], 3
	v_lshlrev_b64 v[1:2], 3, v[1:2]
	s_add_u32 s2, s16, s0
	s_addc_u32 s3, s17, s1
	s_lshl_b64 s[0:1], s[18:19], 3
	s_delay_alu instid0(SALU_CYCLE_1)
	s_add_u32 s0, s2, s0
	s_addc_u32 s1, s3, s1
	v_add_co_u32 v1, vcc_lo, s0, v1
	v_add_co_ci_u32_e32 v2, vcc_lo, s1, v2, vcc_lo
	v_mad_u64_u32 v[5:6], null, v0, s29, v[4:5]
	global_load_b64 v[1:2], v[1:2], off
	v_mov_b32_e32 v4, v5
	s_delay_alu instid0(VALU_DEP_1) | instskip(NEXT) | instid1(VALU_DEP_1)
	v_lshlrev_b64 v[3:4], 3, v[3:4]
	v_add_co_u32 v3, vcc_lo, s5, v3
	s_delay_alu instid0(VALU_DEP_2)
	v_add_co_ci_u32_e32 v4, vcc_lo, s6, v4, vcc_lo
	s_waitcnt vmcnt(0)
	global_store_b64 v[3:4], v[1:2], off
.LBB7_2:
	s_nop 0
	s_sendmsg sendmsg(MSG_DEALLOC_VGPRS)
	s_endpgm
	.section	.rodata,"a",@progbits
	.p2align	6, 0x0
	.amdhsa_kernel _ZL19rocblas_copy_kernelIlLi256EP19rocblas_complex_numIfES2_EviT1_lT_lT2_lS4_li
		.amdhsa_group_segment_fixed_size 0
		.amdhsa_private_segment_fixed_size 0
		.amdhsa_kernarg_size 76
		.amdhsa_user_sgpr_count 14
		.amdhsa_user_sgpr_dispatch_ptr 0
		.amdhsa_user_sgpr_queue_ptr 0
		.amdhsa_user_sgpr_kernarg_segment_ptr 1
		.amdhsa_user_sgpr_dispatch_id 0
		.amdhsa_user_sgpr_private_segment_size 0
		.amdhsa_wavefront_size32 1
		.amdhsa_uses_dynamic_stack 0
		.amdhsa_enable_private_segment 0
		.amdhsa_system_sgpr_workgroup_id_x 1
		.amdhsa_system_sgpr_workgroup_id_y 0
		.amdhsa_system_sgpr_workgroup_id_z 1
		.amdhsa_system_sgpr_workgroup_info 0
		.amdhsa_system_vgpr_workitem_id 0
		.amdhsa_next_free_vgpr 7
		.amdhsa_next_free_sgpr 32
		.amdhsa_reserve_vcc 1
		.amdhsa_float_round_mode_32 0
		.amdhsa_float_round_mode_16_64 0
		.amdhsa_float_denorm_mode_32 3
		.amdhsa_float_denorm_mode_16_64 3
		.amdhsa_dx10_clamp 1
		.amdhsa_ieee_mode 1
		.amdhsa_fp16_overflow 0
		.amdhsa_workgroup_processor_mode 1
		.amdhsa_memory_ordered 1
		.amdhsa_forward_progress 0
		.amdhsa_shared_vgpr_count 0
		.amdhsa_exception_fp_ieee_invalid_op 0
		.amdhsa_exception_fp_denorm_src 0
		.amdhsa_exception_fp_ieee_div_zero 0
		.amdhsa_exception_fp_ieee_overflow 0
		.amdhsa_exception_fp_ieee_underflow 0
		.amdhsa_exception_fp_ieee_inexact 0
		.amdhsa_exception_int_div_zero 0
	.end_amdhsa_kernel
	.section	.text._ZL19rocblas_copy_kernelIlLi256EP19rocblas_complex_numIfES2_EviT1_lT_lT2_lS4_li,"axG",@progbits,_ZL19rocblas_copy_kernelIlLi256EP19rocblas_complex_numIfES2_EviT1_lT_lT2_lS4_li,comdat
.Lfunc_end7:
	.size	_ZL19rocblas_copy_kernelIlLi256EP19rocblas_complex_numIfES2_EviT1_lT_lT2_lS4_li, .Lfunc_end7-_ZL19rocblas_copy_kernelIlLi256EP19rocblas_complex_numIfES2_EviT1_lT_lT2_lS4_li
                                        ; -- End function
	.section	.AMDGPU.csdata,"",@progbits
; Kernel info:
; codeLenInByte = 268
; NumSgprs: 34
; NumVgprs: 7
; ScratchSize: 0
; MemoryBound: 0
; FloatMode: 240
; IeeeMode: 1
; LDSByteSize: 0 bytes/workgroup (compile time only)
; SGPRBlocks: 4
; VGPRBlocks: 0
; NumSGPRsForWavesPerEU: 34
; NumVGPRsForWavesPerEU: 7
; Occupancy: 16
; WaveLimiterHint : 0
; COMPUTE_PGM_RSRC2:SCRATCH_EN: 0
; COMPUTE_PGM_RSRC2:USER_SGPR: 14
; COMPUTE_PGM_RSRC2:TRAP_HANDLER: 0
; COMPUTE_PGM_RSRC2:TGID_X_EN: 1
; COMPUTE_PGM_RSRC2:TGID_Y_EN: 0
; COMPUTE_PGM_RSRC2:TGID_Z_EN: 1
; COMPUTE_PGM_RSRC2:TIDIG_COMP_CNT: 0
	.section	.text._ZL19rocblas_copy_kernelIiLi256EP19rocblas_complex_numIfES2_EviT1_lT_lT2_lS4_li,"axG",@progbits,_ZL19rocblas_copy_kernelIiLi256EP19rocblas_complex_numIfES2_EviT1_lT_lT2_lS4_li,comdat
	.globl	_ZL19rocblas_copy_kernelIiLi256EP19rocblas_complex_numIfES2_EviT1_lT_lT2_lS4_li ; -- Begin function _ZL19rocblas_copy_kernelIiLi256EP19rocblas_complex_numIfES2_EviT1_lT_lT2_lS4_li
	.p2align	8
	.type	_ZL19rocblas_copy_kernelIiLi256EP19rocblas_complex_numIfES2_EviT1_lT_lT2_lS4_li,@function
_ZL19rocblas_copy_kernelIiLi256EP19rocblas_complex_numIfES2_EviT1_lT_lT2_lS4_li: ; @_ZL19rocblas_copy_kernelIiLi256EP19rocblas_complex_numIfES2_EviT1_lT_lT2_lS4_li
; %bb.0:
	s_load_b32 s2, s[0:1], 0x0
	v_lshl_or_b32 v0, s14, 8, v0
	v_mov_b32_e32 v1, 0
	s_waitcnt lgkmcnt(0)
	s_ashr_i32 s3, s2, 31
	s_delay_alu instid0(VALU_DEP_1) | instid1(SALU_CYCLE_1)
	v_cmp_gt_i64_e32 vcc_lo, s[2:3], v[0:1]
	s_and_saveexec_b32 s2, vcc_lo
	s_cbranch_execz .LBB8_2
; %bb.1:
	s_clause 0x5
	s_load_b32 s12, s[0:1], 0x18
	s_load_b32 s13, s[0:1], 0x38
	s_load_b64 s[8:9], s[0:1], 0x40
	s_load_b128 s[4:7], s[0:1], 0x20
	s_load_b64 s[10:11], s[0:1], 0x30
	s_load_b128 s[0:3], s[0:1], 0x8
	s_waitcnt lgkmcnt(0)
	v_mad_u64_u32 v[1:2], null, s12, v0, 0
	s_ashr_i32 s12, s12, 31
	s_mul_i32 s9, s15, s9
	s_mul_hi_u32 s16, s15, s8
	s_mul_i32 s8, s15, s8
	s_add_i32 s9, s16, s9
	s_ashr_i32 s14, s13, 31
	s_delay_alu instid0(VALU_DEP_1)
	v_mad_u64_u32 v[3:4], null, s12, v0, v[2:3]
	s_lshl_b64 s[8:9], s[8:9], 3
	s_mul_i32 s5, s15, s5
	s_add_u32 s8, s6, s8
	s_addc_u32 s9, s7, s9
	s_lshl_b64 s[6:7], s[10:11], 3
	s_mul_hi_u32 s16, s15, s4
	s_delay_alu instid0(VALU_DEP_1)
	v_mov_b32_e32 v2, v3
	s_add_u32 s6, s8, s6
	s_mul_i32 s4, s15, s4
	s_addc_u32 s7, s9, s7
	s_add_i32 s5, s16, s5
	v_lshlrev_b64 v[1:2], 3, v[1:2]
	s_lshl_b64 s[4:5], s[4:5], 3
	v_mad_u64_u32 v[3:4], null, s13, v0, 0
	s_add_u32 s4, s0, s4
	s_addc_u32 s5, s1, s5
	s_lshl_b64 s[0:1], s[2:3], 3
	s_delay_alu instid0(SALU_CYCLE_1)
	s_add_u32 s0, s4, s0
	s_addc_u32 s1, s5, s1
	v_add_co_u32 v1, vcc_lo, s0, v1
	v_add_co_ci_u32_e32 v2, vcc_lo, s1, v2, vcc_lo
	v_mad_u64_u32 v[5:6], null, s14, v0, v[4:5]
	global_load_b64 v[1:2], v[1:2], off
	v_mov_b32_e32 v4, v5
	s_delay_alu instid0(VALU_DEP_1) | instskip(NEXT) | instid1(VALU_DEP_1)
	v_lshlrev_b64 v[3:4], 3, v[3:4]
	v_add_co_u32 v3, vcc_lo, s6, v3
	s_delay_alu instid0(VALU_DEP_2)
	v_add_co_ci_u32_e32 v4, vcc_lo, s7, v4, vcc_lo
	s_waitcnt vmcnt(0)
	global_store_b64 v[3:4], v[1:2], off
.LBB8_2:
	s_nop 0
	s_sendmsg sendmsg(MSG_DEALLOC_VGPRS)
	s_endpgm
	.section	.rodata,"a",@progbits
	.p2align	6, 0x0
	.amdhsa_kernel _ZL19rocblas_copy_kernelIiLi256EP19rocblas_complex_numIfES2_EviT1_lT_lT2_lS4_li
		.amdhsa_group_segment_fixed_size 0
		.amdhsa_private_segment_fixed_size 0
		.amdhsa_kernarg_size 76
		.amdhsa_user_sgpr_count 14
		.amdhsa_user_sgpr_dispatch_ptr 0
		.amdhsa_user_sgpr_queue_ptr 0
		.amdhsa_user_sgpr_kernarg_segment_ptr 1
		.amdhsa_user_sgpr_dispatch_id 0
		.amdhsa_user_sgpr_private_segment_size 0
		.amdhsa_wavefront_size32 1
		.amdhsa_uses_dynamic_stack 0
		.amdhsa_enable_private_segment 0
		.amdhsa_system_sgpr_workgroup_id_x 1
		.amdhsa_system_sgpr_workgroup_id_y 0
		.amdhsa_system_sgpr_workgroup_id_z 1
		.amdhsa_system_sgpr_workgroup_info 0
		.amdhsa_system_vgpr_workitem_id 0
		.amdhsa_next_free_vgpr 7
		.amdhsa_next_free_sgpr 17
		.amdhsa_reserve_vcc 1
		.amdhsa_float_round_mode_32 0
		.amdhsa_float_round_mode_16_64 0
		.amdhsa_float_denorm_mode_32 3
		.amdhsa_float_denorm_mode_16_64 3
		.amdhsa_dx10_clamp 1
		.amdhsa_ieee_mode 1
		.amdhsa_fp16_overflow 0
		.amdhsa_workgroup_processor_mode 1
		.amdhsa_memory_ordered 1
		.amdhsa_forward_progress 0
		.amdhsa_shared_vgpr_count 0
		.amdhsa_exception_fp_ieee_invalid_op 0
		.amdhsa_exception_fp_denorm_src 0
		.amdhsa_exception_fp_ieee_div_zero 0
		.amdhsa_exception_fp_ieee_overflow 0
		.amdhsa_exception_fp_ieee_underflow 0
		.amdhsa_exception_fp_ieee_inexact 0
		.amdhsa_exception_int_div_zero 0
	.end_amdhsa_kernel
	.section	.text._ZL19rocblas_copy_kernelIiLi256EP19rocblas_complex_numIfES2_EviT1_lT_lT2_lS4_li,"axG",@progbits,_ZL19rocblas_copy_kernelIiLi256EP19rocblas_complex_numIfES2_EviT1_lT_lT2_lS4_li,comdat
.Lfunc_end8:
	.size	_ZL19rocblas_copy_kernelIiLi256EP19rocblas_complex_numIfES2_EviT1_lT_lT2_lS4_li, .Lfunc_end8-_ZL19rocblas_copy_kernelIiLi256EP19rocblas_complex_numIfES2_EviT1_lT_lT2_lS4_li
                                        ; -- End function
	.section	.AMDGPU.csdata,"",@progbits
; Kernel info:
; codeLenInByte = 320
; NumSgprs: 19
; NumVgprs: 7
; ScratchSize: 0
; MemoryBound: 0
; FloatMode: 240
; IeeeMode: 1
; LDSByteSize: 0 bytes/workgroup (compile time only)
; SGPRBlocks: 2
; VGPRBlocks: 0
; NumSGPRsForWavesPerEU: 19
; NumVGPRsForWavesPerEU: 7
; Occupancy: 16
; WaveLimiterHint : 0
; COMPUTE_PGM_RSRC2:SCRATCH_EN: 0
; COMPUTE_PGM_RSRC2:USER_SGPR: 14
; COMPUTE_PGM_RSRC2:TRAP_HANDLER: 0
; COMPUTE_PGM_RSRC2:TGID_X_EN: 1
; COMPUTE_PGM_RSRC2:TGID_Y_EN: 0
; COMPUTE_PGM_RSRC2:TGID_Z_EN: 1
; COMPUTE_PGM_RSRC2:TIDIG_COMP_CNT: 0
	.section	.text._ZL20rocblas_tbmvx_kernelILi64ELi16EPK19rocblas_complex_numIfEPS1_Ev18rocblas_operation_bbiiT1_lllS6_T2_llli,"axG",@progbits,_ZL20rocblas_tbmvx_kernelILi64ELi16EPK19rocblas_complex_numIfEPS1_Ev18rocblas_operation_bbiiT1_lllS6_T2_llli,comdat
	.globl	_ZL20rocblas_tbmvx_kernelILi64ELi16EPK19rocblas_complex_numIfEPS1_Ev18rocblas_operation_bbiiT1_lllS6_T2_llli ; -- Begin function _ZL20rocblas_tbmvx_kernelILi64ELi16EPK19rocblas_complex_numIfEPS1_Ev18rocblas_operation_bbiiT1_lllS6_T2_llli
	.p2align	8
	.type	_ZL20rocblas_tbmvx_kernelILi64ELi16EPK19rocblas_complex_numIfEPS1_Ev18rocblas_operation_bbiiT1_lllS6_T2_llli,@function
_ZL20rocblas_tbmvx_kernelILi64ELi16EPK19rocblas_complex_numIfEPS1_Ev18rocblas_operation_bbiiT1_lllS6_T2_llli: ; @_ZL20rocblas_tbmvx_kernelILi64ELi16EPK19rocblas_complex_numIfEPS1_Ev18rocblas_operation_bbiiT1_lllS6_T2_llli
; %bb.0:
	s_load_b64 s[2:3], s[0:1], 0x6c
	s_waitcnt lgkmcnt(0)
	s_lshr_b32 s4, s2, 16
	s_and_b32 s2, s2, 0xffff
	s_and_b32 s3, s3, 0xffff
	s_mul_i32 s4, s4, s2
	s_delay_alu instid0(SALU_CYCLE_1) | instskip(NEXT) | instid1(SALU_CYCLE_1)
	s_mul_i32 s4, s4, s3
	s_cmpk_lg_i32 s4, 0x400
	s_cbranch_scc1 .LBB9_76
; %bb.1:
	s_clause 0x2
	s_load_b64 s[12:13], s[0:1], 0x0
	s_load_b512 s[16:31], s[0:1], 0x10
	s_load_b128 s[4:7], s[0:1], 0x4
	v_and_b32_e32 v1, 0x3ff, v0
	v_bfe_u32 v0, v0, 10, 10
	s_mov_b32 s33, -1
	s_delay_alu instid0(VALU_DEP_1) | instskip(NEXT) | instid1(VALU_DEP_1)
	v_mad_u32_u24 v14, v0, s2, v1
	v_and_b32_e32 v15, 63, v14
	v_lshrrev_b32_e32 v0, 6, v14
	s_waitcnt lgkmcnt(0)
	s_bitcmp1_b32 s13, 0
	s_mul_i32 s2, s15, s23
	s_mul_hi_u32 s3, s15, s22
	s_cselect_b32 s7, -1, 0
	s_bitcmp1_b32 s4, 8
	s_mul_hi_u32 s10, s5, s15
	s_cselect_b32 s13, -1, 0
	s_add_i32 s9, s3, s2
	s_ashr_i32 s2, s5, 31
	s_lshl_b32 s4, s14, 6
	s_mul_i32 s2, s2, s15
	v_or_b32_e32 v3, s4, v15
	s_add_i32 s11, s10, s2
	s_mul_i32 s8, s15, s22
	s_cmpk_lg_i32 s12, 0x6f
	s_mul_i32 s10, s5, s15
	s_cbranch_scc0 .LBB9_4
; %bb.2:
	v_mov_b32_e32 v1, 0
	v_cmp_ge_i32_e64 s2, s6, v0
	s_mov_b32 s33, 0
	s_delay_alu instid0(VALU_DEP_2) | instskip(SKIP_1) | instid1(VALU_DEP_3)
	v_cmp_gt_i64_e32 vcc_lo, s[20:21], v[0:1]
	v_mov_b32_e32 v2, v1
	s_and_b32 s2, s2, vcc_lo
	s_delay_alu instid0(SALU_CYCLE_1)
	s_and_saveexec_b32 s14, s2
	s_cbranch_execz .LBB9_48
; %bb.3:
	v_ashrrev_i32_e32 v4, 31, v3
	v_mul_lo_u32 v2, v3, s21
	v_mad_u64_u32 v[5:6], null, v3, s20, 0
	s_xor_b32 s22, s7, -1
	s_delay_alu instid0(VALU_DEP_3)
	v_mul_lo_u32 v7, v4, s20
	s_xor_b32 s23, s13, -1
	s_cmpk_lg_i32 s12, 0x71
	v_cmp_gt_i32_e64 s2, s5, v3
	s_cselect_b32 s12, -1, 0
	s_lshl_b64 s[34:35], s[8:9], 3
	v_xad_u32 v16, v3, -1, s5
	s_add_u32 s3, s16, s34
	v_add3_u32 v6, v6, v2, v7
	s_addc_u32 s36, s17, s35
	s_lshl_b64 s[34:35], s[18:19], 3
	v_lshlrev_b64 v[7:8], 3, v[3:4]
	s_add_u32 s3, s3, s34
	v_lshlrev_b64 v[5:6], 3, v[5:6]
	s_addc_u32 s36, s36, s35
	s_lshl_b64 s[34:35], s[10:11], 3
	v_mov_b32_e32 v2, 0
	s_add_u32 s34, s24, s34
	s_addc_u32 s35, s25, s35
	v_add_co_u32 v4, vcc_lo, s3, v5
	v_add_co_ci_u32_e32 v5, vcc_lo, s36, v6, vcc_lo
	v_add_co_u32 v6, vcc_lo, s34, v7
	v_add_co_ci_u32_e32 v7, vcc_lo, s35, v8, vcc_lo
	v_mov_b32_e32 v9, v1
	v_sub_nc_u32_e32 v17, s6, v3
	v_dual_mov_b32 v8, v0 :: v_dual_mov_b32 v1, v2
	s_mov_b32 s36, 0
	s_branch .LBB9_10
.LBB9_4:
                                        ; implicit-def: $vgpr1
	s_and_not1_b32 vcc_lo, exec_lo, s33
	s_cbranch_vccz .LBB9_49
	s_branch .LBB9_74
.LBB9_5:                                ;   in Loop: Header=BB9_10 Depth=1
	s_delay_alu instid0(VALU_DEP_1)
	v_dual_mov_b32 v2, v10 :: v_dual_mov_b32 v1, v9
.LBB9_6:                                ;   in Loop: Header=BB9_10 Depth=1
	s_or_b32 exec_lo, exec_lo, s38
.LBB9_7:                                ;   in Loop: Header=BB9_10 Depth=1
	s_delay_alu instid0(SALU_CYCLE_1) | instskip(NEXT) | instid1(VALU_DEP_1)
	s_or_b32 exec_lo, exec_lo, s3
	v_dual_mov_b32 v10, v2 :: v_dual_mov_b32 v11, v1
.LBB9_8:                                ;   in Loop: Header=BB9_10 Depth=1
	s_delay_alu instid0(VALU_DEP_1)
	v_dual_mov_b32 v1, v11 :: v_dual_mov_b32 v2, v10
.LBB9_9:                                ;   in Loop: Header=BB9_10 Depth=1
	s_or_b32 exec_lo, exec_lo, s37
	v_add_nc_u32_e32 v8, 16, v8
	s_delay_alu instid0(VALU_DEP_1) | instskip(SKIP_1) | instid1(VALU_DEP_2)
	v_ashrrev_i32_e32 v9, 31, v8
	v_cmp_lt_i32_e64 s3, s6, v8
	v_cmp_le_i64_e32 vcc_lo, s[20:21], v[8:9]
	s_delay_alu instid0(VALU_DEP_2) | instskip(NEXT) | instid1(SALU_CYCLE_1)
	s_or_b32 s3, s3, vcc_lo
	s_and_b32 s3, exec_lo, s3
	s_delay_alu instid0(SALU_CYCLE_1) | instskip(NEXT) | instid1(SALU_CYCLE_1)
	s_or_b32 s36, s3, s36
	s_and_not1_b32 exec_lo, exec_lo, s36
	s_cbranch_execz .LBB9_47
.LBB9_10:                               ; =>This Inner Loop Header: Depth=1
	s_and_saveexec_b32 s37, s2
	s_cbranch_execz .LBB9_9
; %bb.11:                               ;   in Loop: Header=BB9_10 Depth=1
	s_and_b32 vcc_lo, exec_lo, s22
	s_cbranch_vccz .LBB9_17
; %bb.12:                               ;   in Loop: Header=BB9_10 Depth=1
	v_cmp_gt_i64_e32 vcc_lo, 1, v[8:9]
	v_cmp_lt_i32_e64 s3, v16, v8
                                        ; implicit-def: $vgpr10
                                        ; implicit-def: $vgpr11
	s_delay_alu instid0(VALU_DEP_1) | instskip(NEXT) | instid1(SALU_CYCLE_1)
	s_or_b32 s3, vcc_lo, s3
	s_and_saveexec_b32 s38, s3
	s_delay_alu instid0(SALU_CYCLE_1)
	s_xor_b32 s3, exec_lo, s38
	s_cbranch_execz .LBB9_24
; %bb.13:                               ;   in Loop: Header=BB9_10 Depth=1
	v_dual_mov_b32 v10, v2 :: v_dual_mov_b32 v11, v1
	s_mov_b32 s38, exec_lo
	v_cmpx_eq_u64_e32 0, v[8:9]
	s_cbranch_execz .LBB9_23
; %bb.14:                               ;   in Loop: Header=BB9_10 Depth=1
	s_and_b32 vcc_lo, exec_lo, s23
	s_cbranch_vccz .LBB9_18
; %bb.15:                               ;   in Loop: Header=BB9_10 Depth=1
	s_and_b32 vcc_lo, exec_lo, s12
	s_cbranch_vccz .LBB9_19
; %bb.16:                               ;   in Loop: Header=BB9_10 Depth=1
	global_load_b64 v[10:11], v[4:5], off
	s_cbranch_execz .LBB9_20
	s_branch .LBB9_21
.LBB9_17:                               ;   in Loop: Header=BB9_10 Depth=1
                                        ; implicit-def: $vgpr10
                                        ; implicit-def: $vgpr11
	s_branch .LBB9_31
.LBB9_18:                               ;   in Loop: Header=BB9_10 Depth=1
                                        ; implicit-def: $vgpr10
                                        ; implicit-def: $vgpr11
	s_cbranch_execnz .LBB9_22
	s_branch .LBB9_23
.LBB9_19:                               ;   in Loop: Header=BB9_10 Depth=1
                                        ; implicit-def: $vgpr10
.LBB9_20:                               ;   in Loop: Header=BB9_10 Depth=1
	global_load_b64 v[10:11], v[4:5], off
	s_waitcnt vmcnt(0)
	v_xor_b32_e32 v11, 0x80000000, v11
.LBB9_21:                               ;   in Loop: Header=BB9_10 Depth=1
	global_load_b64 v[12:13], v[6:7], off
	s_waitcnt vmcnt(0)
	v_mul_f32_e32 v18, v13, v11
	v_mul_f32_e32 v13, v13, v10
	s_delay_alu instid0(VALU_DEP_2) | instskip(NEXT) | instid1(VALU_DEP_2)
	v_fma_f32 v10, v12, v10, -v18
	v_fmac_f32_e32 v13, v12, v11
	s_delay_alu instid0(VALU_DEP_1)
	v_dual_add_f32 v11, v1, v10 :: v_dual_add_f32 v10, v2, v13
	s_branch .LBB9_23
.LBB9_22:                               ;   in Loop: Header=BB9_10 Depth=1
	global_load_b64 v[11:12], v[6:7], off
	s_waitcnt vmcnt(0)
	v_dual_add_f32 v11, v1, v11 :: v_dual_add_f32 v10, v2, v12
.LBB9_23:                               ;   in Loop: Header=BB9_10 Depth=1
	s_or_b32 exec_lo, exec_lo, s38
.LBB9_24:                               ;   in Loop: Header=BB9_10 Depth=1
	s_and_not1_saveexec_b32 s3, s3
	s_cbranch_execz .LBB9_30
; %bb.25:                               ;   in Loop: Header=BB9_10 Depth=1
	v_lshlrev_b64 v[10:11], 3, v[8:9]
	s_delay_alu instid0(VALU_DEP_1) | instskip(NEXT) | instid1(VALU_DEP_2)
	v_add_co_u32 v12, vcc_lo, v4, v10
	v_add_co_ci_u32_e32 v13, vcc_lo, v5, v11, vcc_lo
	s_and_b32 vcc_lo, exec_lo, s12
	s_cbranch_vccz .LBB9_27
; %bb.26:                               ;   in Loop: Header=BB9_10 Depth=1
	global_load_b64 v[10:11], v[12:13], off
	s_cbranch_execz .LBB9_28
	s_branch .LBB9_29
.LBB9_27:                               ;   in Loop: Header=BB9_10 Depth=1
                                        ; implicit-def: $vgpr10
.LBB9_28:                               ;   in Loop: Header=BB9_10 Depth=1
	global_load_b64 v[10:11], v[12:13], off
	s_waitcnt vmcnt(0)
	v_xor_b32_e32 v11, 0x80000000, v11
.LBB9_29:                               ;   in Loop: Header=BB9_10 Depth=1
	v_add_nc_u32_e32 v12, v3, v8
	s_delay_alu instid0(VALU_DEP_1) | instskip(NEXT) | instid1(VALU_DEP_1)
	v_ashrrev_i32_e32 v13, 31, v12
	v_lshlrev_b64 v[12:13], 3, v[12:13]
	s_delay_alu instid0(VALU_DEP_1) | instskip(NEXT) | instid1(VALU_DEP_2)
	v_add_co_u32 v12, vcc_lo, s34, v12
	v_add_co_ci_u32_e32 v13, vcc_lo, s35, v13, vcc_lo
	global_load_b64 v[12:13], v[12:13], off
	s_waitcnt vmcnt(0)
	v_mul_f32_e32 v18, v13, v11
	v_mul_f32_e32 v13, v13, v10
	s_delay_alu instid0(VALU_DEP_2) | instskip(NEXT) | instid1(VALU_DEP_2)
	v_fma_f32 v10, v12, v10, -v18
	v_fmac_f32_e32 v13, v12, v11
	s_delay_alu instid0(VALU_DEP_1)
	v_dual_add_f32 v11, v1, v10 :: v_dual_add_f32 v10, v2, v13
.LBB9_30:                               ;   in Loop: Header=BB9_10 Depth=1
	s_or_b32 exec_lo, exec_lo, s3
	s_cbranch_execnz .LBB9_8
.LBB9_31:                               ;   in Loop: Header=BB9_10 Depth=1
	v_cmp_gt_i32_e32 vcc_lo, s6, v8
	v_cmp_ge_i32_e64 s3, v8, v17
	s_delay_alu instid0(VALU_DEP_1) | instskip(NEXT) | instid1(SALU_CYCLE_1)
	s_and_b32 s3, vcc_lo, s3
	s_and_saveexec_b32 s38, s3
	s_delay_alu instid0(SALU_CYCLE_1)
	s_xor_b32 s3, exec_lo, s38
	s_cbranch_execz .LBB9_37
; %bb.32:                               ;   in Loop: Header=BB9_10 Depth=1
	v_lshlrev_b64 v[10:11], 3, v[8:9]
	s_delay_alu instid0(VALU_DEP_1) | instskip(NEXT) | instid1(VALU_DEP_2)
	v_add_co_u32 v12, vcc_lo, v4, v10
	v_add_co_ci_u32_e32 v13, vcc_lo, v5, v11, vcc_lo
	s_and_b32 vcc_lo, exec_lo, s12
	s_cbranch_vccz .LBB9_34
; %bb.33:                               ;   in Loop: Header=BB9_10 Depth=1
	global_load_b64 v[10:11], v[12:13], off
	s_cbranch_execz .LBB9_35
	s_branch .LBB9_36
.LBB9_34:                               ;   in Loop: Header=BB9_10 Depth=1
                                        ; implicit-def: $vgpr11
.LBB9_35:                               ;   in Loop: Header=BB9_10 Depth=1
	global_load_b64 v[10:11], v[12:13], off
	s_waitcnt vmcnt(0)
	v_xor_b32_e32 v11, 0x80000000, v11
.LBB9_36:                               ;   in Loop: Header=BB9_10 Depth=1
	v_sub_nc_u32_e32 v12, v8, v17
	s_delay_alu instid0(VALU_DEP_1) | instskip(NEXT) | instid1(VALU_DEP_1)
	v_ashrrev_i32_e32 v13, 31, v12
	v_lshlrev_b64 v[12:13], 3, v[12:13]
	s_delay_alu instid0(VALU_DEP_1) | instskip(NEXT) | instid1(VALU_DEP_2)
	v_add_co_u32 v12, vcc_lo, s34, v12
	v_add_co_ci_u32_e32 v13, vcc_lo, s35, v13, vcc_lo
	global_load_b64 v[12:13], v[12:13], off
	s_waitcnt vmcnt(0)
	v_mul_f32_e32 v18, v13, v11
	v_mul_f32_e32 v13, v13, v10
	s_delay_alu instid0(VALU_DEP_2) | instskip(NEXT) | instid1(VALU_DEP_2)
	v_fma_f32 v10, v12, v10, -v18
	v_fmac_f32_e32 v13, v12, v11
	s_delay_alu instid0(VALU_DEP_1)
	v_dual_add_f32 v1, v1, v10 :: v_dual_add_f32 v2, v2, v13
.LBB9_37:                               ;   in Loop: Header=BB9_10 Depth=1
	s_and_not1_saveexec_b32 s3, s3
	s_cbranch_execz .LBB9_7
; %bb.38:                               ;   in Loop: Header=BB9_10 Depth=1
	s_mov_b32 s38, exec_lo
	v_cmpx_eq_u32_e64 s6, v8
	s_cbranch_execz .LBB9_6
; %bb.39:                               ;   in Loop: Header=BB9_10 Depth=1
	s_and_b32 vcc_lo, exec_lo, s23
	s_cbranch_vccz .LBB9_42
; %bb.40:                               ;   in Loop: Header=BB9_10 Depth=1
	v_lshlrev_b64 v[9:10], 3, v[8:9]
	s_delay_alu instid0(VALU_DEP_1) | instskip(NEXT) | instid1(VALU_DEP_2)
	v_add_co_u32 v11, vcc_lo, v4, v9
	v_add_co_ci_u32_e32 v12, vcc_lo, v5, v10, vcc_lo
	s_and_b32 vcc_lo, exec_lo, s12
	s_cbranch_vccz .LBB9_43
; %bb.41:                               ;   in Loop: Header=BB9_10 Depth=1
	global_load_b64 v[9:10], v[11:12], off
	s_cbranch_execz .LBB9_44
	s_branch .LBB9_45
.LBB9_42:                               ;   in Loop: Header=BB9_10 Depth=1
                                        ; implicit-def: $vgpr10
                                        ; implicit-def: $vgpr9
	s_cbranch_execz .LBB9_5
	s_branch .LBB9_46
.LBB9_43:                               ;   in Loop: Header=BB9_10 Depth=1
                                        ; implicit-def: $vgpr9
.LBB9_44:                               ;   in Loop: Header=BB9_10 Depth=1
	global_load_b64 v[9:10], v[11:12], off
	s_waitcnt vmcnt(0)
	v_xor_b32_e32 v10, 0x80000000, v10
.LBB9_45:                               ;   in Loop: Header=BB9_10 Depth=1
	global_load_b64 v[11:12], v[6:7], off
	s_waitcnt vmcnt(0)
	v_mul_f32_e32 v13, v12, v10
	v_mul_f32_e32 v12, v12, v9
	s_delay_alu instid0(VALU_DEP_1) | instskip(NEXT) | instid1(VALU_DEP_1)
	v_fmac_f32_e32 v12, v11, v10
	v_add_f32_e32 v10, v2, v12
	s_delay_alu instid0(VALU_DEP_4) | instskip(NEXT) | instid1(VALU_DEP_1)
	v_fma_f32 v9, v11, v9, -v13
	v_add_f32_e32 v9, v1, v9
	s_branch .LBB9_5
.LBB9_46:                               ;   in Loop: Header=BB9_10 Depth=1
	global_load_b64 v[9:10], v[6:7], off
	s_waitcnt vmcnt(0)
	v_dual_add_f32 v9, v1, v9 :: v_dual_add_f32 v10, v2, v10
	s_branch .LBB9_5
.LBB9_47:
	s_or_b32 exec_lo, exec_lo, s36
.LBB9_48:
	s_delay_alu instid0(SALU_CYCLE_1) | instskip(NEXT) | instid1(SALU_CYCLE_1)
	s_or_b32 exec_lo, exec_lo, s14
	s_and_not1_b32 vcc_lo, exec_lo, s33
	s_cbranch_vccnz .LBB9_74
.LBB9_49:
	v_dual_mov_b32 v1, 0 :: v_dual_mov_b32 v2, 0
	s_mov_b32 s14, 0
	s_mov_b32 s12, exec_lo
	v_cmpx_gt_i32_e64 s5, v0
	s_cbranch_execz .LBB9_73
; %bb.50:
	s_and_b32 s2, s7, exec_lo
	s_cselect_b32 s2, s6, 0
	v_mad_u64_u32 v[1:2], null, s20, v0, 0
	v_add3_u32 v4, s2, s4, v15
	v_cmp_gt_i32_e64 s2, s5, v3
	s_and_b32 s3, s7, s13
	v_lshlrev_b32_e32 v7, 3, v0
	s_xor_b32 s22, s3, -1
	v_sub_nc_u32_e32 v3, v4, v0
	v_mov_b32_e32 v4, 0
	s_xor_b32 s3, s13, -1
	s_cmp_lg_u32 s6, 0
	s_delay_alu instid0(VALU_DEP_2) | instskip(SKIP_3) | instid1(SALU_CYCLE_1)
	v_mad_u64_u32 v[5:6], null, s21, v0, v[2:3]
	s_cselect_b32 s13, -1, 0
	s_lshl_b64 s[10:11], s[10:11], 3
	s_and_b32 s7, s13, s7
	s_or_b32 s3, s7, s3
	s_ashr_i32 s7, s6, 31
	s_xor_b32 s13, s3, -1
	s_delay_alu instid0(VALU_DEP_1) | instskip(SKIP_3) | instid1(VALU_DEP_1)
	v_mov_b32_e32 v2, v5
	s_add_u32 s3, s24, s10
	s_addc_u32 s10, s25, s11
	v_add_co_u32 v6, s3, s3, v7
	v_add_co_ci_u32_e64 v7, null, s10, 0, s3
	v_lshlrev_b64 v[1:2], 3, v[1:2]
	s_lshl_b64 s[10:11], s[18:19], 3
	s_lshl_b64 s[8:9], s[8:9], 3
	s_add_u32 s3, s16, s10
	v_add_co_u32 v5, vcc_lo, v6, 4
	s_addc_u32 s10, s17, s11
	s_add_u32 s3, s3, s8
	v_add_co_ci_u32_e32 v6, vcc_lo, 0, v7, vcc_lo
	s_addc_u32 s8, s10, s9
	v_add_co_u32 v7, vcc_lo, s3, v1
	v_mov_b32_e32 v1, v4
	v_add_co_ci_u32_e32 v8, vcc_lo, s8, v2, vcc_lo
	v_mov_b32_e32 v2, v4
	s_lshl_b64 s[8:9], s[20:21], 7
	s_lshl_b64 s[10:11], s[6:7], 3
	s_branch .LBB9_53
.LBB9_51:                               ;   in Loop: Header=BB9_53 Depth=1
	s_or_b32 exec_lo, exec_lo, s3
.LBB9_52:                               ;   in Loop: Header=BB9_53 Depth=1
	s_delay_alu instid0(SALU_CYCLE_1) | instskip(SKIP_3) | instid1(VALU_DEP_3)
	s_or_b32 exec_lo, exec_lo, s7
	v_add_nc_u32_e32 v0, 16, v0
	v_add_co_u32 v5, vcc_lo, 0x80, v5
	v_add_co_ci_u32_e32 v6, vcc_lo, 0, v6, vcc_lo
	v_cmp_le_i32_e32 vcc_lo, s5, v0
	v_add_co_u32 v7, s3, v7, s8
	v_add_nc_u32_e32 v3, -16, v3
	v_add_co_ci_u32_e64 v8, s3, s9, v8, s3
	s_or_b32 s14, vcc_lo, s14
	s_delay_alu instid0(SALU_CYCLE_1)
	s_and_not1_b32 exec_lo, exec_lo, s14
	s_cbranch_execz .LBB9_72
.LBB9_53:                               ; =>This Inner Loop Header: Depth=1
	s_and_saveexec_b32 s7, s2
	s_cbranch_execz .LBB9_52
; %bb.54:                               ;   in Loop: Header=BB9_53 Depth=1
	v_cmp_le_i32_e32 vcc_lo, s6, v3
	v_cmp_gt_i32_e64 s3, 1, v3
	s_delay_alu instid0(VALU_DEP_1) | instskip(NEXT) | instid1(SALU_CYCLE_1)
	s_or_b32 s3, vcc_lo, s3
	s_and_saveexec_b32 s16, s3
	s_delay_alu instid0(SALU_CYCLE_1)
	s_xor_b32 s3, exec_lo, s16
	s_cbranch_execz .LBB9_68
; %bb.55:                               ;   in Loop: Header=BB9_53 Depth=1
	s_mov_b32 s16, exec_lo
	v_cmpx_ne_u32_e32 0, v3
	s_xor_b32 s16, exec_lo, s16
	s_cbranch_execz .LBB9_62
; %bb.56:                               ;   in Loop: Header=BB9_53 Depth=1
	s_mov_b32 s17, exec_lo
	v_cmpx_eq_u32_e64 s6, v3
	s_cbranch_execz .LBB9_61
; %bb.57:                               ;   in Loop: Header=BB9_53 Depth=1
	s_and_b32 vcc_lo, exec_lo, s22
	s_cbranch_vccz .LBB9_71
; %bb.58:                               ;   in Loop: Header=BB9_53 Depth=1
	v_add_co_u32 v9, vcc_lo, v7, s10
	v_add_co_ci_u32_e32 v10, vcc_lo, s11, v8, vcc_lo
	global_load_b64 v[11:12], v[5:6], off offset:-4
	global_load_b64 v[9:10], v[9:10], off
	s_waitcnt vmcnt(0)
	v_mul_f32_e32 v13, v12, v10
	v_mul_f32_e32 v10, v11, v10
	s_delay_alu instid0(VALU_DEP_2) | instskip(NEXT) | instid1(VALU_DEP_1)
	v_fma_f32 v11, v11, v9, -v13
	v_dual_fmac_f32 v10, v12, v9 :: v_dual_add_f32 v9, v1, v11
	s_delay_alu instid0(VALU_DEP_1)
	v_add_f32_e32 v10, v2, v10
	s_cbranch_execnz .LBB9_60
.LBB9_59:                               ;   in Loop: Header=BB9_53 Depth=1
	global_load_b64 v[9:10], v[5:6], off offset:-4
	s_waitcnt vmcnt(0)
	v_dual_add_f32 v9, v1, v9 :: v_dual_add_f32 v10, v2, v10
.LBB9_60:                               ;   in Loop: Header=BB9_53 Depth=1
	s_delay_alu instid0(VALU_DEP_1)
	v_dual_mov_b32 v2, v10 :: v_dual_mov_b32 v1, v9
.LBB9_61:                               ;   in Loop: Header=BB9_53 Depth=1
	s_or_b32 exec_lo, exec_lo, s17
.LBB9_62:                               ;   in Loop: Header=BB9_53 Depth=1
	s_and_not1_saveexec_b32 s16, s16
	s_cbranch_execz .LBB9_67
; %bb.63:                               ;   in Loop: Header=BB9_53 Depth=1
	s_and_not1_b32 vcc_lo, exec_lo, s13
	s_cbranch_vccnz .LBB9_70
; %bb.64:                               ;   in Loop: Header=BB9_53 Depth=1
	global_load_b64 v[9:10], v[5:6], off offset:-4
	s_waitcnt vmcnt(0)
	v_dual_add_f32 v9, v1, v9 :: v_dual_add_f32 v10, v2, v10
	s_cbranch_execnz .LBB9_66
.LBB9_65:                               ;   in Loop: Header=BB9_53 Depth=1
	global_load_b64 v[9:10], v[7:8], off
	global_load_b64 v[11:12], v[5:6], off offset:-4
	s_waitcnt vmcnt(0)
	v_mul_f32_e32 v13, v12, v10
	v_mul_f32_e32 v10, v11, v10
	s_delay_alu instid0(VALU_DEP_2) | instskip(NEXT) | instid1(VALU_DEP_1)
	v_fma_f32 v11, v11, v9, -v13
	v_dual_fmac_f32 v10, v12, v9 :: v_dual_add_f32 v9, v1, v11
	s_delay_alu instid0(VALU_DEP_1)
	v_add_f32_e32 v10, v2, v10
.LBB9_66:                               ;   in Loop: Header=BB9_53 Depth=1
	s_delay_alu instid0(VALU_DEP_1)
	v_dual_mov_b32 v2, v10 :: v_dual_mov_b32 v1, v9
.LBB9_67:                               ;   in Loop: Header=BB9_53 Depth=1
	s_or_b32 exec_lo, exec_lo, s16
.LBB9_68:                               ;   in Loop: Header=BB9_53 Depth=1
	s_and_not1_saveexec_b32 s3, s3
	s_cbranch_execz .LBB9_51
; %bb.69:                               ;   in Loop: Header=BB9_53 Depth=1
	v_lshlrev_b64 v[9:10], 3, v[3:4]
	s_delay_alu instid0(VALU_DEP_1) | instskip(NEXT) | instid1(VALU_DEP_2)
	v_add_co_u32 v9, vcc_lo, v7, v9
	v_add_co_ci_u32_e32 v10, vcc_lo, v8, v10, vcc_lo
	global_load_b64 v[11:12], v[5:6], off offset:-4
	global_load_b64 v[9:10], v[9:10], off
	s_waitcnt vmcnt(0)
	v_mul_f32_e32 v13, v12, v10
	v_mul_f32_e32 v10, v11, v10
	s_delay_alu instid0(VALU_DEP_2) | instskip(NEXT) | instid1(VALU_DEP_1)
	v_fma_f32 v11, v11, v9, -v13
	v_dual_add_f32 v1, v1, v11 :: v_dual_fmac_f32 v10, v12, v9
	s_delay_alu instid0(VALU_DEP_1)
	v_add_f32_e32 v2, v2, v10
	s_branch .LBB9_51
.LBB9_70:                               ;   in Loop: Header=BB9_53 Depth=1
                                        ; implicit-def: $vgpr10
                                        ; implicit-def: $vgpr9
	s_branch .LBB9_65
.LBB9_71:                               ;   in Loop: Header=BB9_53 Depth=1
                                        ; implicit-def: $vgpr10
                                        ; implicit-def: $vgpr9
	s_branch .LBB9_59
.LBB9_72:
	s_or_b32 exec_lo, exec_lo, s14
.LBB9_73:
	s_delay_alu instid0(SALU_CYCLE_1)
	s_or_b32 exec_lo, exec_lo, s12
.LBB9_74:
	v_add_nc_u32_e32 v3, s4, v14
	v_cmp_gt_u32_e32 vcc_lo, 64, v14
	v_lshlrev_b32_e32 v0, 3, v14
	s_delay_alu instid0(VALU_DEP_3)
	v_cmp_gt_i32_e64 s2, s5, v3
	ds_store_b64 v0, v[1:2]
	s_waitcnt lgkmcnt(0)
	s_barrier
	s_and_b32 s2, vcc_lo, s2
	buffer_gl0_inv
	s_and_saveexec_b32 s3, s2
	s_cbranch_execz .LBB9_76
; %bb.75:
	ds_load_2addr_stride64_b64 v[4:7], v0 offset1:1
	ds_load_2addr_stride64_b64 v[8:11], v0 offset0:2 offset1:3
	ds_load_2addr_stride64_b64 v[12:15], v0 offset0:4 offset1:5
	s_load_b64 s[0:1], s[0:1], 0x50
	v_ashrrev_i32_e32 v16, 31, v3
	v_mul_lo_u32 v17, v3, s31
	s_waitcnt lgkmcnt(0)
	v_dual_add_f32 v1, v4, v6 :: v_dual_add_f32 v2, v5, v7
	ds_load_2addr_stride64_b64 v[4:7], v0 offset0:6 offset1:7
	s_mul_i32 s1, s15, s1
	s_mul_hi_u32 s2, s15, s0
	v_dual_add_f32 v1, v1, v8 :: v_dual_add_f32 v2, v2, v9
	s_mul_i32 s0, s15, s0
	s_add_i32 s1, s2, s1
	s_delay_alu instid0(SALU_CYCLE_1) | instskip(NEXT) | instid1(VALU_DEP_1)
	s_lshl_b64 s[0:1], s[0:1], 3
	v_dual_add_f32 v1, v1, v10 :: v_dual_add_f32 v2, v2, v11
	ds_load_2addr_stride64_b64 v[8:11], v0 offset0:8 offset1:9
	s_add_u32 s2, s26, s0
	s_addc_u32 s3, s27, s1
	v_dual_add_f32 v1, v1, v12 :: v_dual_add_f32 v2, v2, v13
	s_lshl_b64 s[0:1], s[28:29], 3
	s_delay_alu instid0(SALU_CYCLE_1) | instskip(NEXT) | instid1(VALU_DEP_1)
	s_add_u32 s0, s2, s0
	v_dual_add_f32 v1, v1, v14 :: v_dual_add_f32 v2, v2, v15
	ds_load_2addr_stride64_b64 v[12:15], v0 offset0:10 offset1:11
	s_addc_u32 s1, s3, s1
	s_waitcnt lgkmcnt(2)
	v_dual_add_f32 v1, v1, v4 :: v_dual_add_f32 v2, v2, v5
	s_delay_alu instid0(VALU_DEP_1) | instskip(SKIP_3) | instid1(VALU_DEP_1)
	v_dual_add_f32 v1, v1, v6 :: v_dual_add_f32 v2, v2, v7
	ds_load_2addr_stride64_b64 v[4:7], v0 offset0:12 offset1:13
	s_waitcnt lgkmcnt(2)
	v_dual_add_f32 v1, v1, v8 :: v_dual_add_f32 v2, v2, v9
	v_dual_add_f32 v1, v1, v10 :: v_dual_add_f32 v2, v2, v11
	ds_load_2addr_stride64_b64 v[8:11], v0 offset0:14 offset1:15
	s_waitcnt lgkmcnt(2)
	v_dual_add_f32 v12, v1, v12 :: v_dual_add_f32 v13, v2, v13
	v_mad_u64_u32 v[1:2], null, v3, s30, 0
	v_mul_lo_u32 v3, v16, s30
	s_delay_alu instid0(VALU_DEP_3) | instskip(SKIP_1) | instid1(VALU_DEP_1)
	v_dual_add_f32 v12, v12, v14 :: v_dual_add_f32 v13, v13, v15
	s_waitcnt lgkmcnt(1)
	v_dual_add_f32 v4, v12, v4 :: v_dual_add_f32 v5, v13, v5
	s_delay_alu instid0(VALU_DEP_3) | instskip(NEXT) | instid1(VALU_DEP_2)
	v_add3_u32 v2, v2, v17, v3
	v_dual_add_f32 v3, v4, v6 :: v_dual_add_f32 v4, v5, v7
	s_delay_alu instid0(VALU_DEP_2) | instskip(SKIP_1) | instid1(VALU_DEP_2)
	v_lshlrev_b64 v[1:2], 3, v[1:2]
	s_waitcnt lgkmcnt(0)
	v_dual_add_f32 v3, v3, v8 :: v_dual_add_f32 v4, v4, v9
	s_delay_alu instid0(VALU_DEP_2) | instskip(NEXT) | instid1(VALU_DEP_2)
	v_add_co_u32 v1, vcc_lo, s0, v1
	v_dual_add_f32 v3, v3, v10 :: v_dual_add_f32 v4, v4, v11
	s_delay_alu instid0(VALU_DEP_4)
	v_add_co_ci_u32_e32 v2, vcc_lo, s1, v2, vcc_lo
	ds_store_b64 v0, v[3:4]
	global_store_b64 v[1:2], v[3:4], off
.LBB9_76:
	s_nop 0
	s_sendmsg sendmsg(MSG_DEALLOC_VGPRS)
	s_endpgm
	.section	.rodata,"a",@progbits
	.p2align	6, 0x0
	.amdhsa_kernel _ZL20rocblas_tbmvx_kernelILi64ELi16EPK19rocblas_complex_numIfEPS1_Ev18rocblas_operation_bbiiT1_lllS6_T2_llli
		.amdhsa_group_segment_fixed_size 8192
		.amdhsa_private_segment_fixed_size 0
		.amdhsa_kernarg_size 352
		.amdhsa_user_sgpr_count 14
		.amdhsa_user_sgpr_dispatch_ptr 0
		.amdhsa_user_sgpr_queue_ptr 0
		.amdhsa_user_sgpr_kernarg_segment_ptr 1
		.amdhsa_user_sgpr_dispatch_id 0
		.amdhsa_user_sgpr_private_segment_size 0
		.amdhsa_wavefront_size32 1
		.amdhsa_uses_dynamic_stack 0
		.amdhsa_enable_private_segment 0
		.amdhsa_system_sgpr_workgroup_id_x 1
		.amdhsa_system_sgpr_workgroup_id_y 0
		.amdhsa_system_sgpr_workgroup_id_z 1
		.amdhsa_system_sgpr_workgroup_info 0
		.amdhsa_system_vgpr_workitem_id 1
		.amdhsa_next_free_vgpr 19
		.amdhsa_next_free_sgpr 39
		.amdhsa_reserve_vcc 1
		.amdhsa_float_round_mode_32 0
		.amdhsa_float_round_mode_16_64 0
		.amdhsa_float_denorm_mode_32 3
		.amdhsa_float_denorm_mode_16_64 3
		.amdhsa_dx10_clamp 1
		.amdhsa_ieee_mode 1
		.amdhsa_fp16_overflow 0
		.amdhsa_workgroup_processor_mode 1
		.amdhsa_memory_ordered 1
		.amdhsa_forward_progress 0
		.amdhsa_shared_vgpr_count 0
		.amdhsa_exception_fp_ieee_invalid_op 0
		.amdhsa_exception_fp_denorm_src 0
		.amdhsa_exception_fp_ieee_div_zero 0
		.amdhsa_exception_fp_ieee_overflow 0
		.amdhsa_exception_fp_ieee_underflow 0
		.amdhsa_exception_fp_ieee_inexact 0
		.amdhsa_exception_int_div_zero 0
	.end_amdhsa_kernel
	.section	.text._ZL20rocblas_tbmvx_kernelILi64ELi16EPK19rocblas_complex_numIfEPS1_Ev18rocblas_operation_bbiiT1_lllS6_T2_llli,"axG",@progbits,_ZL20rocblas_tbmvx_kernelILi64ELi16EPK19rocblas_complex_numIfEPS1_Ev18rocblas_operation_bbiiT1_lllS6_T2_llli,comdat
.Lfunc_end9:
	.size	_ZL20rocblas_tbmvx_kernelILi64ELi16EPK19rocblas_complex_numIfEPS1_Ev18rocblas_operation_bbiiT1_lllS6_T2_llli, .Lfunc_end9-_ZL20rocblas_tbmvx_kernelILi64ELi16EPK19rocblas_complex_numIfEPS1_Ev18rocblas_operation_bbiiT1_lllS6_T2_llli
                                        ; -- End function
	.section	.AMDGPU.csdata,"",@progbits
; Kernel info:
; codeLenInByte = 2448
; NumSgprs: 41
; NumVgprs: 19
; ScratchSize: 0
; MemoryBound: 0
; FloatMode: 240
; IeeeMode: 1
; LDSByteSize: 8192 bytes/workgroup (compile time only)
; SGPRBlocks: 5
; VGPRBlocks: 2
; NumSGPRsForWavesPerEU: 41
; NumVGPRsForWavesPerEU: 19
; Occupancy: 16
; WaveLimiterHint : 0
; COMPUTE_PGM_RSRC2:SCRATCH_EN: 0
; COMPUTE_PGM_RSRC2:USER_SGPR: 14
; COMPUTE_PGM_RSRC2:TRAP_HANDLER: 0
; COMPUTE_PGM_RSRC2:TGID_X_EN: 1
; COMPUTE_PGM_RSRC2:TGID_Y_EN: 0
; COMPUTE_PGM_RSRC2:TGID_Z_EN: 1
; COMPUTE_PGM_RSRC2:TIDIG_COMP_CNT: 1
	.section	.text._ZL19rocblas_copy_kernelIlLi256EP19rocblas_complex_numIdES2_EviT1_lT_lT2_lS4_li,"axG",@progbits,_ZL19rocblas_copy_kernelIlLi256EP19rocblas_complex_numIdES2_EviT1_lT_lT2_lS4_li,comdat
	.globl	_ZL19rocblas_copy_kernelIlLi256EP19rocblas_complex_numIdES2_EviT1_lT_lT2_lS4_li ; -- Begin function _ZL19rocblas_copy_kernelIlLi256EP19rocblas_complex_numIdES2_EviT1_lT_lT2_lS4_li
	.p2align	8
	.type	_ZL19rocblas_copy_kernelIlLi256EP19rocblas_complex_numIdES2_EviT1_lT_lT2_lS4_li,@function
_ZL19rocblas_copy_kernelIlLi256EP19rocblas_complex_numIdES2_EviT1_lT_lT2_lS4_li: ; @_ZL19rocblas_copy_kernelIlLi256EP19rocblas_complex_numIdES2_EviT1_lT_lT2_lS4_li
; %bb.0:
	s_load_b32 s2, s[0:1], 0x0
	v_lshl_or_b32 v0, s14, 8, v0
	v_mov_b32_e32 v1, 0
	s_waitcnt lgkmcnt(0)
	s_ashr_i32 s3, s2, 31
	s_delay_alu instid0(VALU_DEP_1) | instid1(SALU_CYCLE_1)
	v_cmp_gt_i64_e32 vcc_lo, s[2:3], v[0:1]
	s_and_saveexec_b32 s2, vcc_lo
	s_cbranch_execz .LBB10_2
; %bb.1:
	s_load_b512 s[16:31], s[0:1], 0x8
	s_waitcnt lgkmcnt(0)
	v_mad_u64_u32 v[1:2], null, v0, s20, 0
	s_mul_i32 s1, s15, s31
	s_mul_hi_u32 s2, s15, s30
	s_mul_i32 s0, s15, s30
	s_add_i32 s1, s2, s1
	s_mul_i32 s3, s15, s23
	s_lshl_b64 s[0:1], s[0:1], 4
	s_delay_alu instid0(VALU_DEP_1)
	v_mad_u64_u32 v[3:4], null, v0, s21, v[2:3]
	s_add_u32 s5, s24, s0
	s_addc_u32 s6, s25, s1
	s_lshl_b64 s[0:1], s[26:27], 4
	s_mul_hi_u32 s4, s15, s22
	s_add_u32 s5, s5, s0
	s_mul_i32 s2, s15, s22
	s_delay_alu instid0(VALU_DEP_1)
	v_mov_b32_e32 v2, v3
	s_addc_u32 s6, s6, s1
	s_add_i32 s3, s4, s3
	v_mad_u64_u32 v[5:6], null, v0, s28, 0
	s_lshl_b64 s[0:1], s[2:3], 4
	v_lshlrev_b64 v[1:2], 4, v[1:2]
	s_add_u32 s2, s16, s0
	s_addc_u32 s3, s17, s1
	s_lshl_b64 s[0:1], s[18:19], 4
	s_delay_alu instid0(SALU_CYCLE_1)
	s_add_u32 s0, s2, s0
	s_addc_u32 s1, s3, s1
	v_add_co_u32 v1, vcc_lo, s0, v1
	v_add_co_ci_u32_e32 v2, vcc_lo, s1, v2, vcc_lo
	v_mad_u64_u32 v[7:8], null, v0, s29, v[6:7]
	global_load_b128 v[1:4], v[1:2], off
	v_mov_b32_e32 v6, v7
	s_delay_alu instid0(VALU_DEP_1) | instskip(NEXT) | instid1(VALU_DEP_1)
	v_lshlrev_b64 v[5:6], 4, v[5:6]
	v_add_co_u32 v5, vcc_lo, s5, v5
	s_delay_alu instid0(VALU_DEP_2)
	v_add_co_ci_u32_e32 v6, vcc_lo, s6, v6, vcc_lo
	s_waitcnt vmcnt(0)
	global_store_b128 v[5:6], v[1:4], off
.LBB10_2:
	s_nop 0
	s_sendmsg sendmsg(MSG_DEALLOC_VGPRS)
	s_endpgm
	.section	.rodata,"a",@progbits
	.p2align	6, 0x0
	.amdhsa_kernel _ZL19rocblas_copy_kernelIlLi256EP19rocblas_complex_numIdES2_EviT1_lT_lT2_lS4_li
		.amdhsa_group_segment_fixed_size 0
		.amdhsa_private_segment_fixed_size 0
		.amdhsa_kernarg_size 76
		.amdhsa_user_sgpr_count 14
		.amdhsa_user_sgpr_dispatch_ptr 0
		.amdhsa_user_sgpr_queue_ptr 0
		.amdhsa_user_sgpr_kernarg_segment_ptr 1
		.amdhsa_user_sgpr_dispatch_id 0
		.amdhsa_user_sgpr_private_segment_size 0
		.amdhsa_wavefront_size32 1
		.amdhsa_uses_dynamic_stack 0
		.amdhsa_enable_private_segment 0
		.amdhsa_system_sgpr_workgroup_id_x 1
		.amdhsa_system_sgpr_workgroup_id_y 0
		.amdhsa_system_sgpr_workgroup_id_z 1
		.amdhsa_system_sgpr_workgroup_info 0
		.amdhsa_system_vgpr_workitem_id 0
		.amdhsa_next_free_vgpr 9
		.amdhsa_next_free_sgpr 32
		.amdhsa_reserve_vcc 1
		.amdhsa_float_round_mode_32 0
		.amdhsa_float_round_mode_16_64 0
		.amdhsa_float_denorm_mode_32 3
		.amdhsa_float_denorm_mode_16_64 3
		.amdhsa_dx10_clamp 1
		.amdhsa_ieee_mode 1
		.amdhsa_fp16_overflow 0
		.amdhsa_workgroup_processor_mode 1
		.amdhsa_memory_ordered 1
		.amdhsa_forward_progress 0
		.amdhsa_shared_vgpr_count 0
		.amdhsa_exception_fp_ieee_invalid_op 0
		.amdhsa_exception_fp_denorm_src 0
		.amdhsa_exception_fp_ieee_div_zero 0
		.amdhsa_exception_fp_ieee_overflow 0
		.amdhsa_exception_fp_ieee_underflow 0
		.amdhsa_exception_fp_ieee_inexact 0
		.amdhsa_exception_int_div_zero 0
	.end_amdhsa_kernel
	.section	.text._ZL19rocblas_copy_kernelIlLi256EP19rocblas_complex_numIdES2_EviT1_lT_lT2_lS4_li,"axG",@progbits,_ZL19rocblas_copy_kernelIlLi256EP19rocblas_complex_numIdES2_EviT1_lT_lT2_lS4_li,comdat
.Lfunc_end10:
	.size	_ZL19rocblas_copy_kernelIlLi256EP19rocblas_complex_numIdES2_EviT1_lT_lT2_lS4_li, .Lfunc_end10-_ZL19rocblas_copy_kernelIlLi256EP19rocblas_complex_numIdES2_EviT1_lT_lT2_lS4_li
                                        ; -- End function
	.section	.AMDGPU.csdata,"",@progbits
; Kernel info:
; codeLenInByte = 268
; NumSgprs: 34
; NumVgprs: 9
; ScratchSize: 0
; MemoryBound: 0
; FloatMode: 240
; IeeeMode: 1
; LDSByteSize: 0 bytes/workgroup (compile time only)
; SGPRBlocks: 4
; VGPRBlocks: 1
; NumSGPRsForWavesPerEU: 34
; NumVGPRsForWavesPerEU: 9
; Occupancy: 16
; WaveLimiterHint : 0
; COMPUTE_PGM_RSRC2:SCRATCH_EN: 0
; COMPUTE_PGM_RSRC2:USER_SGPR: 14
; COMPUTE_PGM_RSRC2:TRAP_HANDLER: 0
; COMPUTE_PGM_RSRC2:TGID_X_EN: 1
; COMPUTE_PGM_RSRC2:TGID_Y_EN: 0
; COMPUTE_PGM_RSRC2:TGID_Z_EN: 1
; COMPUTE_PGM_RSRC2:TIDIG_COMP_CNT: 0
	.section	.text._ZL19rocblas_copy_kernelIiLi256EP19rocblas_complex_numIdES2_EviT1_lT_lT2_lS4_li,"axG",@progbits,_ZL19rocblas_copy_kernelIiLi256EP19rocblas_complex_numIdES2_EviT1_lT_lT2_lS4_li,comdat
	.globl	_ZL19rocblas_copy_kernelIiLi256EP19rocblas_complex_numIdES2_EviT1_lT_lT2_lS4_li ; -- Begin function _ZL19rocblas_copy_kernelIiLi256EP19rocblas_complex_numIdES2_EviT1_lT_lT2_lS4_li
	.p2align	8
	.type	_ZL19rocblas_copy_kernelIiLi256EP19rocblas_complex_numIdES2_EviT1_lT_lT2_lS4_li,@function
_ZL19rocblas_copy_kernelIiLi256EP19rocblas_complex_numIdES2_EviT1_lT_lT2_lS4_li: ; @_ZL19rocblas_copy_kernelIiLi256EP19rocblas_complex_numIdES2_EviT1_lT_lT2_lS4_li
; %bb.0:
	s_load_b32 s2, s[0:1], 0x0
	v_lshl_or_b32 v0, s14, 8, v0
	v_mov_b32_e32 v1, 0
	s_waitcnt lgkmcnt(0)
	s_ashr_i32 s3, s2, 31
	s_delay_alu instid0(VALU_DEP_1) | instid1(SALU_CYCLE_1)
	v_cmp_gt_i64_e32 vcc_lo, s[2:3], v[0:1]
	s_and_saveexec_b32 s2, vcc_lo
	s_cbranch_execz .LBB11_2
; %bb.1:
	s_clause 0x5
	s_load_b32 s12, s[0:1], 0x18
	s_load_b32 s13, s[0:1], 0x38
	s_load_b64 s[8:9], s[0:1], 0x40
	s_load_b128 s[4:7], s[0:1], 0x20
	s_load_b64 s[10:11], s[0:1], 0x30
	s_load_b128 s[0:3], s[0:1], 0x8
	s_waitcnt lgkmcnt(0)
	v_mad_u64_u32 v[1:2], null, s12, v0, 0
	s_ashr_i32 s12, s12, 31
	s_mul_i32 s9, s15, s9
	s_mul_hi_u32 s16, s15, s8
	s_mul_i32 s8, s15, s8
	s_add_i32 s9, s16, s9
	s_ashr_i32 s14, s13, 31
	s_delay_alu instid0(VALU_DEP_1)
	v_mad_u64_u32 v[3:4], null, s12, v0, v[2:3]
	s_lshl_b64 s[8:9], s[8:9], 4
	s_mul_i32 s5, s15, s5
	s_add_u32 s8, s6, s8
	s_addc_u32 s9, s7, s9
	s_lshl_b64 s[6:7], s[10:11], 4
	s_mul_hi_u32 s16, s15, s4
	s_delay_alu instid0(VALU_DEP_1)
	v_mov_b32_e32 v2, v3
	s_add_u32 s6, s8, s6
	s_mul_i32 s4, s15, s4
	s_addc_u32 s7, s9, s7
	s_add_i32 s5, s16, s5
	v_lshlrev_b64 v[1:2], 4, v[1:2]
	s_lshl_b64 s[4:5], s[4:5], 4
	v_mad_u64_u32 v[5:6], null, s13, v0, 0
	s_add_u32 s4, s0, s4
	s_addc_u32 s5, s1, s5
	s_lshl_b64 s[0:1], s[2:3], 4
	s_delay_alu instid0(SALU_CYCLE_1)
	s_add_u32 s0, s4, s0
	s_addc_u32 s1, s5, s1
	v_add_co_u32 v1, vcc_lo, s0, v1
	v_add_co_ci_u32_e32 v2, vcc_lo, s1, v2, vcc_lo
	v_mad_u64_u32 v[7:8], null, s14, v0, v[6:7]
	global_load_b128 v[1:4], v[1:2], off
	v_mov_b32_e32 v6, v7
	s_delay_alu instid0(VALU_DEP_1) | instskip(NEXT) | instid1(VALU_DEP_1)
	v_lshlrev_b64 v[5:6], 4, v[5:6]
	v_add_co_u32 v5, vcc_lo, s6, v5
	s_delay_alu instid0(VALU_DEP_2)
	v_add_co_ci_u32_e32 v6, vcc_lo, s7, v6, vcc_lo
	s_waitcnt vmcnt(0)
	global_store_b128 v[5:6], v[1:4], off
.LBB11_2:
	s_nop 0
	s_sendmsg sendmsg(MSG_DEALLOC_VGPRS)
	s_endpgm
	.section	.rodata,"a",@progbits
	.p2align	6, 0x0
	.amdhsa_kernel _ZL19rocblas_copy_kernelIiLi256EP19rocblas_complex_numIdES2_EviT1_lT_lT2_lS4_li
		.amdhsa_group_segment_fixed_size 0
		.amdhsa_private_segment_fixed_size 0
		.amdhsa_kernarg_size 76
		.amdhsa_user_sgpr_count 14
		.amdhsa_user_sgpr_dispatch_ptr 0
		.amdhsa_user_sgpr_queue_ptr 0
		.amdhsa_user_sgpr_kernarg_segment_ptr 1
		.amdhsa_user_sgpr_dispatch_id 0
		.amdhsa_user_sgpr_private_segment_size 0
		.amdhsa_wavefront_size32 1
		.amdhsa_uses_dynamic_stack 0
		.amdhsa_enable_private_segment 0
		.amdhsa_system_sgpr_workgroup_id_x 1
		.amdhsa_system_sgpr_workgroup_id_y 0
		.amdhsa_system_sgpr_workgroup_id_z 1
		.amdhsa_system_sgpr_workgroup_info 0
		.amdhsa_system_vgpr_workitem_id 0
		.amdhsa_next_free_vgpr 9
		.amdhsa_next_free_sgpr 17
		.amdhsa_reserve_vcc 1
		.amdhsa_float_round_mode_32 0
		.amdhsa_float_round_mode_16_64 0
		.amdhsa_float_denorm_mode_32 3
		.amdhsa_float_denorm_mode_16_64 3
		.amdhsa_dx10_clamp 1
		.amdhsa_ieee_mode 1
		.amdhsa_fp16_overflow 0
		.amdhsa_workgroup_processor_mode 1
		.amdhsa_memory_ordered 1
		.amdhsa_forward_progress 0
		.amdhsa_shared_vgpr_count 0
		.amdhsa_exception_fp_ieee_invalid_op 0
		.amdhsa_exception_fp_denorm_src 0
		.amdhsa_exception_fp_ieee_div_zero 0
		.amdhsa_exception_fp_ieee_overflow 0
		.amdhsa_exception_fp_ieee_underflow 0
		.amdhsa_exception_fp_ieee_inexact 0
		.amdhsa_exception_int_div_zero 0
	.end_amdhsa_kernel
	.section	.text._ZL19rocblas_copy_kernelIiLi256EP19rocblas_complex_numIdES2_EviT1_lT_lT2_lS4_li,"axG",@progbits,_ZL19rocblas_copy_kernelIiLi256EP19rocblas_complex_numIdES2_EviT1_lT_lT2_lS4_li,comdat
.Lfunc_end11:
	.size	_ZL19rocblas_copy_kernelIiLi256EP19rocblas_complex_numIdES2_EviT1_lT_lT2_lS4_li, .Lfunc_end11-_ZL19rocblas_copy_kernelIiLi256EP19rocblas_complex_numIdES2_EviT1_lT_lT2_lS4_li
                                        ; -- End function
	.section	.AMDGPU.csdata,"",@progbits
; Kernel info:
; codeLenInByte = 320
; NumSgprs: 19
; NumVgprs: 9
; ScratchSize: 0
; MemoryBound: 0
; FloatMode: 240
; IeeeMode: 1
; LDSByteSize: 0 bytes/workgroup (compile time only)
; SGPRBlocks: 2
; VGPRBlocks: 1
; NumSGPRsForWavesPerEU: 19
; NumVGPRsForWavesPerEU: 9
; Occupancy: 16
; WaveLimiterHint : 0
; COMPUTE_PGM_RSRC2:SCRATCH_EN: 0
; COMPUTE_PGM_RSRC2:USER_SGPR: 14
; COMPUTE_PGM_RSRC2:TRAP_HANDLER: 0
; COMPUTE_PGM_RSRC2:TGID_X_EN: 1
; COMPUTE_PGM_RSRC2:TGID_Y_EN: 0
; COMPUTE_PGM_RSRC2:TGID_Z_EN: 1
; COMPUTE_PGM_RSRC2:TIDIG_COMP_CNT: 0
	.section	.text._ZL20rocblas_tbmvx_kernelILi64ELi16EPK19rocblas_complex_numIdEPS1_Ev18rocblas_operation_bbiiT1_lllS6_T2_llli,"axG",@progbits,_ZL20rocblas_tbmvx_kernelILi64ELi16EPK19rocblas_complex_numIdEPS1_Ev18rocblas_operation_bbiiT1_lllS6_T2_llli,comdat
	.globl	_ZL20rocblas_tbmvx_kernelILi64ELi16EPK19rocblas_complex_numIdEPS1_Ev18rocblas_operation_bbiiT1_lllS6_T2_llli ; -- Begin function _ZL20rocblas_tbmvx_kernelILi64ELi16EPK19rocblas_complex_numIdEPS1_Ev18rocblas_operation_bbiiT1_lllS6_T2_llli
	.p2align	8
	.type	_ZL20rocblas_tbmvx_kernelILi64ELi16EPK19rocblas_complex_numIdEPS1_Ev18rocblas_operation_bbiiT1_lllS6_T2_llli,@function
_ZL20rocblas_tbmvx_kernelILi64ELi16EPK19rocblas_complex_numIdEPS1_Ev18rocblas_operation_bbiiT1_lllS6_T2_llli: ; @_ZL20rocblas_tbmvx_kernelILi64ELi16EPK19rocblas_complex_numIdEPS1_Ev18rocblas_operation_bbiiT1_lllS6_T2_llli
; %bb.0:
	s_load_b64 s[2:3], s[0:1], 0x6c
	s_waitcnt lgkmcnt(0)
	s_lshr_b32 s4, s2, 16
	s_and_b32 s2, s2, 0xffff
	s_and_b32 s3, s3, 0xffff
	s_mul_i32 s4, s4, s2
	s_delay_alu instid0(SALU_CYCLE_1) | instskip(NEXT) | instid1(SALU_CYCLE_1)
	s_mul_i32 s4, s4, s3
	s_cmpk_lg_i32 s4, 0x400
	s_cbranch_scc1 .LBB12_60
; %bb.1:
	s_clause 0x2
	s_load_b64 s[12:13], s[0:1], 0x0
	s_load_b512 s[16:31], s[0:1], 0x10
	s_load_b128 s[4:7], s[0:1], 0x4
	v_and_b32_e32 v1, 0x3ff, v0
	v_bfe_u32 v0, v0, 10, 10
	s_delay_alu instid0(VALU_DEP_1) | instskip(SKIP_1) | instid1(VALU_DEP_1)
	v_mad_u32_u24 v17, v0, s2, v1
	s_mov_b32 s2, -1
	v_and_b32_e32 v18, 63, v17
	v_lshrrev_b32_e32 v4, 6, v17
	s_waitcnt lgkmcnt(0)
	s_bitcmp1_b32 s13, 0
	s_mul_i32 s3, s15, s23
	s_mul_hi_u32 s9, s15, s22
	s_cselect_b32 s7, -1, 0
	s_bitcmp1_b32 s4, 8
	s_mul_i32 s8, s15, s22
	s_cselect_b32 s22, -1, 0
	s_add_i32 s9, s9, s3
	s_ashr_i32 s3, s5, 31
	s_lshl_b32 s13, s14, 6
	s_mul_hi_u32 s4, s5, s15
	s_mul_i32 s3, s3, s15
	v_or_b32_e32 v6, s13, v18
	s_add_i32 s11, s4, s3
	s_cmpk_lg_i32 s12, 0x6f
	s_mul_i32 s10, s5, s15
	s_cbranch_scc0 .LBB12_4
; %bb.2:
	v_dual_mov_b32 v5, 0 :: v_dual_mov_b32 v0, 0
	v_mov_b32_e32 v1, 0
	v_cmp_ge_i32_e64 s2, s6, v4
	s_delay_alu instid0(VALU_DEP_3) | instskip(NEXT) | instid1(VALU_DEP_3)
	v_cmp_gt_i64_e32 vcc_lo, s[20:21], v[4:5]
	v_dual_mov_b32 v3, v1 :: v_dual_mov_b32 v2, v0
	s_delay_alu instid0(VALU_DEP_3) | instskip(NEXT) | instid1(SALU_CYCLE_1)
	s_and_b32 s2, s2, vcc_lo
	s_and_saveexec_b32 s14, s2
	s_cbranch_execz .LBB12_32
; %bb.3:
	v_ashrrev_i32_e32 v7, 31, v6
	v_mul_lo_u32 v2, v6, s21
	v_mad_u64_u32 v[0:1], null, v6, s20, 0
	s_xor_b32 s23, s7, -1
	s_delay_alu instid0(VALU_DEP_3)
	v_mul_lo_u32 v3, v7, s20
	s_xor_b32 s33, s22, -1
	s_cmpk_eq_i32 s12, 0x71
	v_lshlrev_b64 v[9:10], 4, v[6:7]
	s_cselect_b32 s2, -1, 0
	s_lshl_b64 s[34:35], s[8:9], 4
	v_cmp_gt_i32_e64 s3, s5, v6
	s_add_u32 s4, s16, s34
	v_add3_u32 v1, v1, v2, v3
	s_addc_u32 s12, s17, s35
	s_lshl_b64 s[34:35], s[18:19], 4
	v_mov_b32_e32 v2, 0
	s_add_u32 s4, s4, s34
	v_lshlrev_b64 v[0:1], 4, v[0:1]
	s_addc_u32 s36, s12, s35
	s_lshl_b64 s[34:35], s[10:11], 4
	v_dual_mov_b32 v3, 0 :: v_dual_mov_b32 v12, v5
	s_add_u32 s12, s24, s34
	s_delay_alu instid0(VALU_DEP_2)
	v_add_co_u32 v7, vcc_lo, s4, v0
	v_add_co_ci_u32_e32 v8, vcc_lo, s36, v1, vcc_lo
	s_addc_u32 s34, s25, s35
	v_add_co_u32 v9, vcc_lo, s12, v9
	v_xad_u32 v19, v6, -1, s5
	v_add_co_ci_u32_e32 v10, vcc_lo, s34, v10, vcc_lo
	v_sub_nc_u32_e32 v20, s6, v6
	v_dual_mov_b32 v11, v4 :: v_dual_mov_b32 v0, v2
	v_mov_b32_e32 v1, v3
	s_mov_b32 s35, 0
	s_branch .LBB12_10
.LBB12_4:
                                        ; implicit-def: $vgpr0_vgpr1
	s_and_not1_b32 vcc_lo, exec_lo, s2
	s_cbranch_vccz .LBB12_33
	s_branch .LBB12_58
.LBB12_5:                               ;   in Loop: Header=BB12_10 Depth=1
	s_delay_alu instid0(VALU_DEP_1) | instskip(NEXT) | instid1(VALU_DEP_3)
	v_dual_mov_b32 v2, v14 :: v_dual_mov_b32 v3, v15
	v_dual_mov_b32 v0, v12 :: v_dual_mov_b32 v1, v13
.LBB12_6:                               ;   in Loop: Header=BB12_10 Depth=1
	s_or_b32 exec_lo, exec_lo, s37
.LBB12_7:                               ;   in Loop: Header=BB12_10 Depth=1
	s_delay_alu instid0(SALU_CYCLE_1) | instskip(NEXT) | instid1(VALU_DEP_1)
	s_or_b32 exec_lo, exec_lo, s4
	v_dual_mov_b32 v14, v3 :: v_dual_mov_b32 v13, v2
	s_delay_alu instid0(VALU_DEP_2)
	v_dual_mov_b32 v16, v1 :: v_dual_mov_b32 v15, v0
.LBB12_8:                               ;   in Loop: Header=BB12_10 Depth=1
	s_delay_alu instid0(VALU_DEP_1) | instskip(NEXT) | instid1(VALU_DEP_2)
	v_dual_mov_b32 v0, v15 :: v_dual_mov_b32 v1, v16
	v_dual_mov_b32 v2, v13 :: v_dual_mov_b32 v3, v14
.LBB12_9:                               ;   in Loop: Header=BB12_10 Depth=1
	s_or_b32 exec_lo, exec_lo, s36
	v_add_nc_u32_e32 v11, 16, v11
	s_delay_alu instid0(VALU_DEP_1) | instskip(SKIP_1) | instid1(VALU_DEP_2)
	v_ashrrev_i32_e32 v12, 31, v11
	v_cmp_lt_i32_e64 s4, s6, v11
	v_cmp_le_i64_e32 vcc_lo, s[20:21], v[11:12]
	s_delay_alu instid0(VALU_DEP_2) | instskip(NEXT) | instid1(SALU_CYCLE_1)
	s_or_b32 s4, s4, vcc_lo
	s_and_b32 s4, exec_lo, s4
	s_delay_alu instid0(SALU_CYCLE_1) | instskip(NEXT) | instid1(SALU_CYCLE_1)
	s_or_b32 s35, s4, s35
	s_and_not1_b32 exec_lo, exec_lo, s35
	s_cbranch_execz .LBB12_31
.LBB12_10:                              ; =>This Inner Loop Header: Depth=1
	s_and_saveexec_b32 s36, s3
	s_cbranch_execz .LBB12_9
; %bb.11:                               ;   in Loop: Header=BB12_10 Depth=1
	s_and_b32 vcc_lo, exec_lo, s23
	s_cbranch_vccz .LBB12_16
; %bb.12:                               ;   in Loop: Header=BB12_10 Depth=1
	v_cmp_gt_i64_e32 vcc_lo, 1, v[11:12]
	v_cmp_lt_i32_e64 s4, v19, v11
                                        ; implicit-def: $vgpr13_vgpr14
                                        ; implicit-def: $vgpr15_vgpr16
	s_delay_alu instid0(VALU_DEP_1) | instskip(NEXT) | instid1(SALU_CYCLE_1)
	s_or_b32 s4, vcc_lo, s4
	s_and_saveexec_b32 s37, s4
	s_delay_alu instid0(SALU_CYCLE_1)
	s_xor_b32 s4, exec_lo, s37
	s_cbranch_execz .LBB12_20
; %bb.13:                               ;   in Loop: Header=BB12_10 Depth=1
	v_dual_mov_b32 v14, v3 :: v_dual_mov_b32 v13, v2
	v_dual_mov_b32 v16, v1 :: v_dual_mov_b32 v15, v0
	s_mov_b32 s37, exec_lo
	v_cmpx_eq_u64_e32 0, v[11:12]
	s_cbranch_execz .LBB12_19
; %bb.14:                               ;   in Loop: Header=BB12_10 Depth=1
	s_and_b32 vcc_lo, exec_lo, s33
	s_cbranch_vccz .LBB12_17
; %bb.15:                               ;   in Loop: Header=BB12_10 Depth=1
	global_load_b128 v[13:16], v[7:8], off
	global_load_b128 v[21:24], v[9:10], off
	s_waitcnt vmcnt(1)
	v_xor_b32_e32 v5, 0x80000000, v16
	s_delay_alu instid0(VALU_DEP_1) | instskip(SKIP_1) | instid1(VALU_DEP_1)
	v_cndmask_b32_e64 v16, v16, v5, s2
	s_waitcnt vmcnt(0)
	v_mul_f64 v[25:26], v[15:16], v[23:24]
	v_mul_f64 v[23:24], v[13:14], v[23:24]
	s_delay_alu instid0(VALU_DEP_2) | instskip(NEXT) | instid1(VALU_DEP_2)
	v_fma_f64 v[13:14], v[13:14], v[21:22], -v[25:26]
	v_fma_f64 v[21:22], v[15:16], v[21:22], v[23:24]
	s_delay_alu instid0(VALU_DEP_2) | instskip(NEXT) | instid1(VALU_DEP_2)
	v_add_f64 v[15:16], v[0:1], v[13:14]
	v_add_f64 v[13:14], v[2:3], v[21:22]
	s_cbranch_execz .LBB12_18
	s_branch .LBB12_19
.LBB12_16:                              ;   in Loop: Header=BB12_10 Depth=1
                                        ; implicit-def: $vgpr13_vgpr14
                                        ; implicit-def: $vgpr15_vgpr16
	s_branch .LBB12_23
.LBB12_17:                              ;   in Loop: Header=BB12_10 Depth=1
                                        ; implicit-def: $vgpr13_vgpr14
                                        ; implicit-def: $vgpr15_vgpr16
.LBB12_18:                              ;   in Loop: Header=BB12_10 Depth=1
	global_load_b128 v[21:24], v[9:10], off
	s_waitcnt vmcnt(0)
	v_add_f64 v[15:16], v[0:1], v[21:22]
	v_add_f64 v[13:14], v[2:3], v[23:24]
.LBB12_19:                              ;   in Loop: Header=BB12_10 Depth=1
	s_or_b32 exec_lo, exec_lo, s37
.LBB12_20:                              ;   in Loop: Header=BB12_10 Depth=1
	s_and_not1_saveexec_b32 s4, s4
	s_cbranch_execz .LBB12_22
; %bb.21:                               ;   in Loop: Header=BB12_10 Depth=1
	v_add_nc_u32_e32 v13, v6, v11
	v_lshlrev_b64 v[15:16], 4, v[11:12]
	s_delay_alu instid0(VALU_DEP_2) | instskip(NEXT) | instid1(VALU_DEP_2)
	v_ashrrev_i32_e32 v14, 31, v13
	v_add_co_u32 v15, vcc_lo, v7, v15
	s_delay_alu instid0(VALU_DEP_3) | instskip(NEXT) | instid1(VALU_DEP_3)
	v_add_co_ci_u32_e32 v16, vcc_lo, v8, v16, vcc_lo
	v_lshlrev_b64 v[21:22], 4, v[13:14]
	global_load_b128 v[13:16], v[15:16], off
	v_add_co_u32 v21, vcc_lo, s12, v21
	v_add_co_ci_u32_e32 v22, vcc_lo, s34, v22, vcc_lo
	global_load_b128 v[21:24], v[21:22], off
	s_waitcnt vmcnt(1)
	v_xor_b32_e32 v5, 0x80000000, v16
	s_delay_alu instid0(VALU_DEP_1) | instskip(SKIP_1) | instid1(VALU_DEP_1)
	v_cndmask_b32_e64 v16, v16, v5, s2
	s_waitcnt vmcnt(0)
	v_mul_f64 v[25:26], v[15:16], v[23:24]
	v_mul_f64 v[23:24], v[13:14], v[23:24]
	s_delay_alu instid0(VALU_DEP_2) | instskip(NEXT) | instid1(VALU_DEP_2)
	v_fma_f64 v[13:14], v[13:14], v[21:22], -v[25:26]
	v_fma_f64 v[21:22], v[15:16], v[21:22], v[23:24]
	s_delay_alu instid0(VALU_DEP_2) | instskip(NEXT) | instid1(VALU_DEP_2)
	v_add_f64 v[15:16], v[0:1], v[13:14]
	v_add_f64 v[13:14], v[2:3], v[21:22]
.LBB12_22:                              ;   in Loop: Header=BB12_10 Depth=1
	s_or_b32 exec_lo, exec_lo, s4
	s_cbranch_execnz .LBB12_8
.LBB12_23:                              ;   in Loop: Header=BB12_10 Depth=1
	v_cmp_gt_i32_e32 vcc_lo, s6, v11
	v_cmp_ge_i32_e64 s4, v11, v20
	s_delay_alu instid0(VALU_DEP_1) | instskip(NEXT) | instid1(SALU_CYCLE_1)
	s_and_b32 s4, vcc_lo, s4
	s_and_saveexec_b32 s37, s4
	s_delay_alu instid0(SALU_CYCLE_1)
	s_xor_b32 s4, exec_lo, s37
	s_cbranch_execz .LBB12_25
; %bb.24:                               ;   in Loop: Header=BB12_10 Depth=1
	v_sub_nc_u32_e32 v13, v11, v20
	v_lshlrev_b64 v[15:16], 4, v[11:12]
	s_delay_alu instid0(VALU_DEP_2) | instskip(NEXT) | instid1(VALU_DEP_2)
	v_ashrrev_i32_e32 v14, 31, v13
	v_add_co_u32 v15, vcc_lo, v7, v15
	s_delay_alu instid0(VALU_DEP_3) | instskip(NEXT) | instid1(VALU_DEP_3)
	v_add_co_ci_u32_e32 v16, vcc_lo, v8, v16, vcc_lo
	v_lshlrev_b64 v[21:22], 4, v[13:14]
	global_load_b128 v[13:16], v[15:16], off
	v_add_co_u32 v21, vcc_lo, s12, v21
	v_add_co_ci_u32_e32 v22, vcc_lo, s34, v22, vcc_lo
	global_load_b128 v[21:24], v[21:22], off
	s_waitcnt vmcnt(1)
	v_xor_b32_e32 v5, 0x80000000, v16
	s_delay_alu instid0(VALU_DEP_1) | instskip(SKIP_1) | instid1(VALU_DEP_1)
	v_cndmask_b32_e64 v16, v16, v5, s2
	s_waitcnt vmcnt(0)
	v_mul_f64 v[25:26], v[15:16], v[23:24]
	v_mul_f64 v[23:24], v[13:14], v[23:24]
	s_delay_alu instid0(VALU_DEP_2) | instskip(NEXT) | instid1(VALU_DEP_2)
	v_fma_f64 v[13:14], v[13:14], v[21:22], -v[25:26]
	v_fma_f64 v[15:16], v[15:16], v[21:22], v[23:24]
	s_delay_alu instid0(VALU_DEP_2) | instskip(NEXT) | instid1(VALU_DEP_2)
	v_add_f64 v[0:1], v[0:1], v[13:14]
	v_add_f64 v[2:3], v[2:3], v[15:16]
.LBB12_25:                              ;   in Loop: Header=BB12_10 Depth=1
	s_and_not1_saveexec_b32 s4, s4
	s_cbranch_execz .LBB12_7
; %bb.26:                               ;   in Loop: Header=BB12_10 Depth=1
	s_mov_b32 s37, exec_lo
	v_cmpx_eq_u32_e64 s6, v11
	s_cbranch_execz .LBB12_6
; %bb.27:                               ;   in Loop: Header=BB12_10 Depth=1
	s_and_b32 vcc_lo, exec_lo, s33
	s_cbranch_vccz .LBB12_29
; %bb.28:                               ;   in Loop: Header=BB12_10 Depth=1
	v_lshlrev_b64 v[12:13], 4, v[11:12]
	s_delay_alu instid0(VALU_DEP_1) | instskip(NEXT) | instid1(VALU_DEP_2)
	v_add_co_u32 v12, vcc_lo, v7, v12
	v_add_co_ci_u32_e32 v13, vcc_lo, v8, v13, vcc_lo
	global_load_b128 v[12:15], v[12:13], off
	global_load_b128 v[21:24], v[9:10], off
	s_waitcnt vmcnt(1)
	v_xor_b32_e32 v5, 0x80000000, v15
	s_delay_alu instid0(VALU_DEP_1) | instskip(SKIP_1) | instid1(VALU_DEP_1)
	v_cndmask_b32_e64 v15, v15, v5, s2
	s_waitcnt vmcnt(0)
	v_mul_f64 v[25:26], v[14:15], v[23:24]
	v_mul_f64 v[23:24], v[12:13], v[23:24]
	s_delay_alu instid0(VALU_DEP_2) | instskip(NEXT) | instid1(VALU_DEP_2)
	v_fma_f64 v[12:13], v[12:13], v[21:22], -v[25:26]
	v_fma_f64 v[14:15], v[14:15], v[21:22], v[23:24]
	s_delay_alu instid0(VALU_DEP_2) | instskip(NEXT) | instid1(VALU_DEP_2)
	v_add_f64 v[12:13], v[0:1], v[12:13]
	v_add_f64 v[14:15], v[2:3], v[14:15]
	s_cbranch_execnz .LBB12_5
	s_branch .LBB12_30
.LBB12_29:                              ;   in Loop: Header=BB12_10 Depth=1
                                        ; implicit-def: $vgpr14_vgpr15
                                        ; implicit-def: $vgpr12_vgpr13
.LBB12_30:                              ;   in Loop: Header=BB12_10 Depth=1
	global_load_b128 v[12:15], v[9:10], off
	s_waitcnt vmcnt(0)
	v_add_f64 v[12:13], v[0:1], v[12:13]
	v_add_f64 v[14:15], v[2:3], v[14:15]
	s_branch .LBB12_5
.LBB12_31:
	s_or_b32 exec_lo, exec_lo, s35
.LBB12_32:
	s_delay_alu instid0(SALU_CYCLE_1)
	s_or_b32 exec_lo, exec_lo, s14
	s_cbranch_execnz .LBB12_58
.LBB12_33:
	v_mov_b32_e32 v0, 0
	v_mov_b32_e32 v1, 0
	s_mov_b32 s4, exec_lo
	s_delay_alu instid0(VALU_DEP_1)
	v_dual_mov_b32 v3, v1 :: v_dual_mov_b32 v2, v0
	v_cmpx_gt_i32_e64 s5, v4
	s_cbranch_execz .LBB12_57
; %bb.34:
	s_and_b32 s2, s7, exec_lo
	v_mad_u64_u32 v[0:1], null, s20, v4, 0
	s_cselect_b32 s2, s6, 0
	s_and_b32 s3, s7, s22
	v_add3_u32 v2, s2, s13, v18
	s_xor_b32 s12, s3, -1
	s_xor_b32 s3, s22, -1
	s_cmp_lg_u32 s6, 0
	v_lshlrev_b32_e32 v7, 4, v4
	s_cselect_b32 s14, -1, 0
	v_sub_nc_u32_e32 v5, v2, v4
	v_mad_u64_u32 v[2:3], null, s21, v4, v[1:2]
	s_and_b32 s7, s14, s7
	s_lshl_b64 s[10:11], s[10:11], 4
	s_or_b32 s3, s7, s3
	s_ashr_i32 s7, s6, 31
	s_xor_b32 s14, s3, -1
	s_add_u32 s3, s24, s10
	v_cmp_gt_i32_e64 s2, s5, v6
	v_mov_b32_e32 v6, 0
	v_add_co_u32 v3, s3, s3, v7
	v_mov_b32_e32 v1, v2
	s_addc_u32 s10, s25, s11
	s_lshl_b64 s[8:9], s[8:9], 4
	v_add_co_ci_u32_e64 v8, null, s10, 0, s3
	v_add_co_u32 v7, vcc_lo, v3, 8
	v_mov_b32_e32 v2, 0
	v_lshlrev_b64 v[0:1], 4, v[0:1]
	s_lshl_b64 s[10:11], s[18:19], 4
	v_add_co_ci_u32_e32 v8, vcc_lo, 0, v8, vcc_lo
	s_add_u32 s3, s16, s10
	s_addc_u32 s10, s17, s11
	s_add_u32 s3, s3, s8
	s_addc_u32 s8, s10, s9
	v_add_co_u32 v0, vcc_lo, s3, v0
	v_add_co_ci_u32_e32 v1, vcc_lo, s8, v1, vcc_lo
	v_mov_b32_e32 v3, 0
	s_delay_alu instid0(VALU_DEP_3) | instskip(NEXT) | instid1(VALU_DEP_3)
	v_add_co_u32 v9, vcc_lo, v0, 8
	v_add_co_ci_u32_e32 v10, vcc_lo, 0, v1, vcc_lo
	s_delay_alu instid0(VALU_DEP_3)
	v_dual_mov_b32 v0, v2 :: v_dual_mov_b32 v1, v3
	s_mov_b32 s16, 0
	s_lshl_b64 s[8:9], s[20:21], 8
	s_lshl_b64 s[10:11], s[6:7], 4
	s_branch .LBB12_37
.LBB12_35:                              ;   in Loop: Header=BB12_37 Depth=1
	s_or_b32 exec_lo, exec_lo, s3
.LBB12_36:                              ;   in Loop: Header=BB12_37 Depth=1
	s_delay_alu instid0(SALU_CYCLE_1) | instskip(SKIP_3) | instid1(VALU_DEP_3)
	s_or_b32 exec_lo, exec_lo, s7
	v_add_nc_u32_e32 v4, 16, v4
	v_add_co_u32 v7, vcc_lo, 0x100, v7
	v_add_co_ci_u32_e32 v8, vcc_lo, 0, v8, vcc_lo
	v_cmp_le_i32_e32 vcc_lo, s5, v4
	v_add_co_u32 v9, s3, v9, s8
	v_add_nc_u32_e32 v5, -16, v5
	v_add_co_ci_u32_e64 v10, s3, s9, v10, s3
	s_or_b32 s16, vcc_lo, s16
	s_delay_alu instid0(SALU_CYCLE_1)
	s_and_not1_b32 exec_lo, exec_lo, s16
	s_cbranch_execz .LBB12_56
.LBB12_37:                              ; =>This Inner Loop Header: Depth=1
	s_and_saveexec_b32 s7, s2
	s_cbranch_execz .LBB12_36
; %bb.38:                               ;   in Loop: Header=BB12_37 Depth=1
	v_cmp_le_i32_e32 vcc_lo, s6, v5
	v_cmp_gt_i32_e64 s3, 1, v5
	s_delay_alu instid0(VALU_DEP_1) | instskip(NEXT) | instid1(SALU_CYCLE_1)
	s_or_b32 s3, vcc_lo, s3
	s_and_saveexec_b32 s17, s3
	s_delay_alu instid0(SALU_CYCLE_1)
	s_xor_b32 s3, exec_lo, s17
	s_cbranch_execz .LBB12_52
; %bb.39:                               ;   in Loop: Header=BB12_37 Depth=1
	s_mov_b32 s17, exec_lo
	v_cmpx_ne_u32_e32 0, v5
	s_xor_b32 s17, exec_lo, s17
	s_cbranch_execz .LBB12_46
; %bb.40:                               ;   in Loop: Header=BB12_37 Depth=1
	s_mov_b32 s18, exec_lo
	v_cmpx_eq_u32_e64 s6, v5
	s_cbranch_execz .LBB12_45
; %bb.41:                               ;   in Loop: Header=BB12_37 Depth=1
	s_and_b32 vcc_lo, exec_lo, s12
	s_cbranch_vccz .LBB12_55
; %bb.42:                               ;   in Loop: Header=BB12_37 Depth=1
	v_add_co_u32 v15, vcc_lo, v9, s10
	v_add_co_ci_u32_e32 v16, vcc_lo, s11, v10, vcc_lo
	global_load_b128 v[11:14], v[7:8], off offset:-8
	global_load_b128 v[18:21], v[15:16], off offset:-8
	s_waitcnt vmcnt(0)
	v_mul_f64 v[15:16], v[13:14], v[20:21]
	v_mul_f64 v[20:21], v[11:12], v[20:21]
	s_delay_alu instid0(VALU_DEP_2) | instskip(NEXT) | instid1(VALU_DEP_2)
	v_fma_f64 v[11:12], v[11:12], v[18:19], -v[15:16]
	v_fma_f64 v[13:14], v[13:14], v[18:19], v[20:21]
	s_delay_alu instid0(VALU_DEP_2) | instskip(NEXT) | instid1(VALU_DEP_2)
	v_add_f64 v[11:12], v[0:1], v[11:12]
	v_add_f64 v[13:14], v[2:3], v[13:14]
	s_cbranch_execnz .LBB12_44
.LBB12_43:                              ;   in Loop: Header=BB12_37 Depth=1
	global_load_b128 v[11:14], v[7:8], off offset:-8
	s_waitcnt vmcnt(0)
	v_add_f64 v[11:12], v[0:1], v[11:12]
	v_add_f64 v[13:14], v[2:3], v[13:14]
.LBB12_44:                              ;   in Loop: Header=BB12_37 Depth=1
	s_delay_alu instid0(VALU_DEP_1) | instskip(NEXT) | instid1(VALU_DEP_3)
	v_dual_mov_b32 v2, v13 :: v_dual_mov_b32 v3, v14
	v_dual_mov_b32 v0, v11 :: v_dual_mov_b32 v1, v12
.LBB12_45:                              ;   in Loop: Header=BB12_37 Depth=1
	s_or_b32 exec_lo, exec_lo, s18
.LBB12_46:                              ;   in Loop: Header=BB12_37 Depth=1
	s_and_not1_saveexec_b32 s17, s17
	s_cbranch_execz .LBB12_51
; %bb.47:                               ;   in Loop: Header=BB12_37 Depth=1
	s_and_not1_b32 vcc_lo, exec_lo, s14
	s_cbranch_vccnz .LBB12_54
; %bb.48:                               ;   in Loop: Header=BB12_37 Depth=1
	global_load_b128 v[11:14], v[7:8], off offset:-8
	s_waitcnt vmcnt(0)
	v_add_f64 v[11:12], v[0:1], v[11:12]
	v_add_f64 v[13:14], v[2:3], v[13:14]
	s_cbranch_execnz .LBB12_50
.LBB12_49:                              ;   in Loop: Header=BB12_37 Depth=1
	global_load_b128 v[11:14], v[7:8], off offset:-8
	global_load_b128 v[18:21], v[9:10], off offset:-8
	s_waitcnt vmcnt(0)
	v_mul_f64 v[15:16], v[13:14], v[20:21]
	v_mul_f64 v[20:21], v[11:12], v[20:21]
	s_delay_alu instid0(VALU_DEP_2) | instskip(NEXT) | instid1(VALU_DEP_2)
	v_fma_f64 v[11:12], v[11:12], v[18:19], -v[15:16]
	v_fma_f64 v[13:14], v[13:14], v[18:19], v[20:21]
	s_delay_alu instid0(VALU_DEP_2) | instskip(NEXT) | instid1(VALU_DEP_2)
	v_add_f64 v[11:12], v[0:1], v[11:12]
	v_add_f64 v[13:14], v[2:3], v[13:14]
.LBB12_50:                              ;   in Loop: Header=BB12_37 Depth=1
	s_delay_alu instid0(VALU_DEP_1) | instskip(NEXT) | instid1(VALU_DEP_3)
	v_dual_mov_b32 v2, v13 :: v_dual_mov_b32 v3, v14
	v_dual_mov_b32 v0, v11 :: v_dual_mov_b32 v1, v12
.LBB12_51:                              ;   in Loop: Header=BB12_37 Depth=1
	s_or_b32 exec_lo, exec_lo, s17
.LBB12_52:                              ;   in Loop: Header=BB12_37 Depth=1
	s_and_not1_saveexec_b32 s3, s3
	s_cbranch_execz .LBB12_35
; %bb.53:                               ;   in Loop: Header=BB12_37 Depth=1
	v_lshlrev_b64 v[11:12], 4, v[5:6]
	s_delay_alu instid0(VALU_DEP_1) | instskip(NEXT) | instid1(VALU_DEP_2)
	v_add_co_u32 v15, vcc_lo, v9, v11
	v_add_co_ci_u32_e32 v16, vcc_lo, v10, v12, vcc_lo
	global_load_b128 v[11:14], v[7:8], off offset:-8
	global_load_b128 v[18:21], v[15:16], off offset:-8
	s_waitcnt vmcnt(0)
	v_mul_f64 v[15:16], v[13:14], v[20:21]
	v_mul_f64 v[20:21], v[11:12], v[20:21]
	s_delay_alu instid0(VALU_DEP_2) | instskip(NEXT) | instid1(VALU_DEP_2)
	v_fma_f64 v[11:12], v[11:12], v[18:19], -v[15:16]
	v_fma_f64 v[13:14], v[13:14], v[18:19], v[20:21]
	s_delay_alu instid0(VALU_DEP_2) | instskip(NEXT) | instid1(VALU_DEP_2)
	v_add_f64 v[0:1], v[0:1], v[11:12]
	v_add_f64 v[2:3], v[2:3], v[13:14]
	s_branch .LBB12_35
.LBB12_54:                              ;   in Loop: Header=BB12_37 Depth=1
                                        ; implicit-def: $vgpr13_vgpr14
                                        ; implicit-def: $vgpr11_vgpr12
	s_branch .LBB12_49
.LBB12_55:                              ;   in Loop: Header=BB12_37 Depth=1
                                        ; implicit-def: $vgpr13_vgpr14
                                        ; implicit-def: $vgpr11_vgpr12
	s_branch .LBB12_43
.LBB12_56:
	s_or_b32 exec_lo, exec_lo, s16
.LBB12_57:
	s_delay_alu instid0(SALU_CYCLE_1)
	s_or_b32 exec_lo, exec_lo, s4
.LBB12_58:
	v_add_nc_u32_e32 v5, s13, v17
	v_cmp_gt_u32_e32 vcc_lo, 64, v17
	v_lshlrev_b32_e32 v4, 4, v17
	s_delay_alu instid0(VALU_DEP_3)
	v_cmp_gt_i32_e64 s2, s5, v5
	ds_store_b128 v4, v[0:3]
	s_waitcnt lgkmcnt(0)
	s_barrier
	s_and_b32 s2, vcc_lo, s2
	buffer_gl0_inv
	s_and_saveexec_b32 s3, s2
	s_cbranch_execz .LBB12_60
; %bb.59:
	ds_load_b128 v[0:3], v4
	ds_load_b128 v[6:9], v4 offset:1024
	s_load_b64 s[0:1], s[0:1], 0x50
	s_waitcnt lgkmcnt(0)
	v_add_f64 v[10:11], v[0:1], v[6:7]
	v_add_f64 v[12:13], v[2:3], v[8:9]
	ds_load_b128 v[0:3], v4 offset:2048
	ds_load_b128 v[6:9], v4 offset:3072
	s_mul_i32 s1, s15, s1
	s_mul_hi_u32 s2, s15, s0
	s_mul_i32 s0, s15, s0
	s_add_i32 s1, s2, s1
	s_delay_alu instid0(SALU_CYCLE_1) | instskip(NEXT) | instid1(SALU_CYCLE_1)
	s_lshl_b64 s[0:1], s[0:1], 4
	s_add_u32 s2, s26, s0
	s_addc_u32 s3, s27, s1
	s_lshl_b64 s[0:1], s[28:29], 4
	s_delay_alu instid0(SALU_CYCLE_1)
	s_add_u32 s0, s2, s0
	s_addc_u32 s1, s3, s1
	s_waitcnt lgkmcnt(1)
	v_add_f64 v[0:1], v[10:11], v[0:1]
	v_add_f64 v[2:3], v[12:13], v[2:3]
	s_waitcnt lgkmcnt(0)
	s_delay_alu instid0(VALU_DEP_2) | instskip(NEXT) | instid1(VALU_DEP_2)
	v_add_f64 v[10:11], v[0:1], v[6:7]
	v_add_f64 v[12:13], v[2:3], v[8:9]
	ds_load_b128 v[0:3], v4 offset:4096
	ds_load_b128 v[6:9], v4 offset:5120
	s_waitcnt lgkmcnt(1)
	v_add_f64 v[0:1], v[10:11], v[0:1]
	v_add_f64 v[2:3], v[12:13], v[2:3]
	s_waitcnt lgkmcnt(0)
	s_delay_alu instid0(VALU_DEP_2) | instskip(NEXT) | instid1(VALU_DEP_2)
	v_add_f64 v[10:11], v[0:1], v[6:7]
	v_add_f64 v[12:13], v[2:3], v[8:9]
	ds_load_b128 v[0:3], v4 offset:6144
	ds_load_b128 v[6:9], v4 offset:7168
	;; [unrolled: 9-line block ×6, first 2 shown]
	s_waitcnt lgkmcnt(1)
	v_add_f64 v[0:1], v[10:11], v[0:1]
	v_add_f64 v[2:3], v[12:13], v[2:3]
	s_waitcnt lgkmcnt(0)
	s_delay_alu instid0(VALU_DEP_2) | instskip(NEXT) | instid1(VALU_DEP_2)
	v_add_f64 v[0:1], v[0:1], v[6:7]
	v_add_f64 v[2:3], v[2:3], v[8:9]
	v_ashrrev_i32_e32 v8, 31, v5
	v_mul_lo_u32 v9, v5, s31
	v_mad_u64_u32 v[6:7], null, v5, s30, 0
	s_delay_alu instid0(VALU_DEP_3) | instskip(NEXT) | instid1(VALU_DEP_1)
	v_mul_lo_u32 v5, v8, s30
	v_add3_u32 v7, v7, v9, v5
	s_delay_alu instid0(VALU_DEP_1) | instskip(NEXT) | instid1(VALU_DEP_1)
	v_lshlrev_b64 v[5:6], 4, v[6:7]
	v_add_co_u32 v5, vcc_lo, s0, v5
	s_delay_alu instid0(VALU_DEP_2)
	v_add_co_ci_u32_e32 v6, vcc_lo, s1, v6, vcc_lo
	ds_store_b128 v4, v[0:3]
	global_store_b128 v[5:6], v[0:3], off
.LBB12_60:
	s_nop 0
	s_sendmsg sendmsg(MSG_DEALLOC_VGPRS)
	s_endpgm
	.section	.rodata,"a",@progbits
	.p2align	6, 0x0
	.amdhsa_kernel _ZL20rocblas_tbmvx_kernelILi64ELi16EPK19rocblas_complex_numIdEPS1_Ev18rocblas_operation_bbiiT1_lllS6_T2_llli
		.amdhsa_group_segment_fixed_size 16384
		.amdhsa_private_segment_fixed_size 0
		.amdhsa_kernarg_size 352
		.amdhsa_user_sgpr_count 14
		.amdhsa_user_sgpr_dispatch_ptr 0
		.amdhsa_user_sgpr_queue_ptr 0
		.amdhsa_user_sgpr_kernarg_segment_ptr 1
		.amdhsa_user_sgpr_dispatch_id 0
		.amdhsa_user_sgpr_private_segment_size 0
		.amdhsa_wavefront_size32 1
		.amdhsa_uses_dynamic_stack 0
		.amdhsa_enable_private_segment 0
		.amdhsa_system_sgpr_workgroup_id_x 1
		.amdhsa_system_sgpr_workgroup_id_y 0
		.amdhsa_system_sgpr_workgroup_id_z 1
		.amdhsa_system_sgpr_workgroup_info 0
		.amdhsa_system_vgpr_workitem_id 1
		.amdhsa_next_free_vgpr 27
		.amdhsa_next_free_sgpr 38
		.amdhsa_reserve_vcc 1
		.amdhsa_float_round_mode_32 0
		.amdhsa_float_round_mode_16_64 0
		.amdhsa_float_denorm_mode_32 3
		.amdhsa_float_denorm_mode_16_64 3
		.amdhsa_dx10_clamp 1
		.amdhsa_ieee_mode 1
		.amdhsa_fp16_overflow 0
		.amdhsa_workgroup_processor_mode 1
		.amdhsa_memory_ordered 1
		.amdhsa_forward_progress 0
		.amdhsa_shared_vgpr_count 0
		.amdhsa_exception_fp_ieee_invalid_op 0
		.amdhsa_exception_fp_denorm_src 0
		.amdhsa_exception_fp_ieee_div_zero 0
		.amdhsa_exception_fp_ieee_overflow 0
		.amdhsa_exception_fp_ieee_underflow 0
		.amdhsa_exception_fp_ieee_inexact 0
		.amdhsa_exception_int_div_zero 0
	.end_amdhsa_kernel
	.section	.text._ZL20rocblas_tbmvx_kernelILi64ELi16EPK19rocblas_complex_numIdEPS1_Ev18rocblas_operation_bbiiT1_lllS6_T2_llli,"axG",@progbits,_ZL20rocblas_tbmvx_kernelILi64ELi16EPK19rocblas_complex_numIdEPS1_Ev18rocblas_operation_bbiiT1_lllS6_T2_llli,comdat
.Lfunc_end12:
	.size	_ZL20rocblas_tbmvx_kernelILi64ELi16EPK19rocblas_complex_numIdEPS1_Ev18rocblas_operation_bbiiT1_lllS6_T2_llli, .Lfunc_end12-_ZL20rocblas_tbmvx_kernelILi64ELi16EPK19rocblas_complex_numIdEPS1_Ev18rocblas_operation_bbiiT1_lllS6_T2_llli
                                        ; -- End function
	.section	.AMDGPU.csdata,"",@progbits
; Kernel info:
; codeLenInByte = 2892
; NumSgprs: 40
; NumVgprs: 27
; ScratchSize: 0
; MemoryBound: 1
; FloatMode: 240
; IeeeMode: 1
; LDSByteSize: 16384 bytes/workgroup (compile time only)
; SGPRBlocks: 4
; VGPRBlocks: 3
; NumSGPRsForWavesPerEU: 40
; NumVGPRsForWavesPerEU: 27
; Occupancy: 16
; WaveLimiterHint : 0
; COMPUTE_PGM_RSRC2:SCRATCH_EN: 0
; COMPUTE_PGM_RSRC2:USER_SGPR: 14
; COMPUTE_PGM_RSRC2:TRAP_HANDLER: 0
; COMPUTE_PGM_RSRC2:TGID_X_EN: 1
; COMPUTE_PGM_RSRC2:TGID_Y_EN: 0
; COMPUTE_PGM_RSRC2:TGID_Z_EN: 1
; COMPUTE_PGM_RSRC2:TIDIG_COMP_CNT: 1
	.section	.text._ZL19rocblas_copy_kernelIlLi256EPKPfS2_EviT1_lT_lT2_lS4_li,"axG",@progbits,_ZL19rocblas_copy_kernelIlLi256EPKPfS2_EviT1_lT_lT2_lS4_li,comdat
	.globl	_ZL19rocblas_copy_kernelIlLi256EPKPfS2_EviT1_lT_lT2_lS4_li ; -- Begin function _ZL19rocblas_copy_kernelIlLi256EPKPfS2_EviT1_lT_lT2_lS4_li
	.p2align	8
	.type	_ZL19rocblas_copy_kernelIlLi256EPKPfS2_EviT1_lT_lT2_lS4_li,@function
_ZL19rocblas_copy_kernelIlLi256EPKPfS2_EviT1_lT_lT2_lS4_li: ; @_ZL19rocblas_copy_kernelIlLi256EPKPfS2_EviT1_lT_lT2_lS4_li
; %bb.0:
	s_load_b32 s4, s[0:1], 0x0
	v_lshl_or_b32 v0, s14, 8, v0
	v_mov_b32_e32 v1, 0
	s_mov_b32 s3, exec_lo
	s_waitcnt lgkmcnt(0)
	s_ashr_i32 s5, s4, 31
	s_delay_alu instid0(VALU_DEP_1) | instid1(SALU_CYCLE_1)
	v_cmpx_gt_i64_e64 s[4:5], v[0:1]
	s_cbranch_execz .LBB13_2
; %bb.1:
	s_clause 0x1
	s_load_b128 s[4:7], s[0:1], 0x28
	s_load_b64 s[8:9], s[0:1], 0x18
	s_mov_b32 s2, s15
	s_mov_b32 s3, 0
	s_load_b64 s[12:13], s[0:1], 0x38
	s_lshl_b64 s[10:11], s[2:3], 3
	s_waitcnt lgkmcnt(0)
	s_add_u32 s2, s4, s10
	s_addc_u32 s3, s5, s11
	s_lshl_b64 s[6:7], s[6:7], 2
	s_load_b64 s[4:5], s[2:3], 0x0
	s_load_b128 s[0:3], s[0:1], 0x8
	v_mad_u64_u32 v[1:2], null, v0, s8, 0
	s_delay_alu instid0(VALU_DEP_1) | instskip(NEXT) | instid1(VALU_DEP_1)
	v_mad_u64_u32 v[3:4], null, v0, s9, v[2:3]
	v_mov_b32_e32 v2, v3
	s_waitcnt lgkmcnt(0)
	s_add_u32 s4, s4, s6
	s_addc_u32 s5, s5, s7
	s_add_u32 s0, s0, s10
	s_addc_u32 s1, s1, s11
	v_lshlrev_b64 v[1:2], 2, v[1:2]
	s_load_b64 s[0:1], s[0:1], 0x0
	s_lshl_b64 s[2:3], s[2:3], 2
	s_waitcnt lgkmcnt(0)
	s_add_u32 s0, s0, s2
	s_addc_u32 s1, s1, s3
	v_add_co_u32 v1, vcc_lo, s0, v1
	v_add_co_ci_u32_e32 v2, vcc_lo, s1, v2, vcc_lo
	global_load_b32 v5, v[1:2], off
	v_mad_u64_u32 v[1:2], null, v0, s12, 0
	s_delay_alu instid0(VALU_DEP_1) | instskip(NEXT) | instid1(VALU_DEP_1)
	v_mad_u64_u32 v[3:4], null, v0, s13, v[2:3]
	v_mov_b32_e32 v2, v3
	s_delay_alu instid0(VALU_DEP_1) | instskip(NEXT) | instid1(VALU_DEP_1)
	v_lshlrev_b64 v[0:1], 2, v[1:2]
	v_add_co_u32 v0, vcc_lo, s4, v0
	s_delay_alu instid0(VALU_DEP_2)
	v_add_co_ci_u32_e32 v1, vcc_lo, s5, v1, vcc_lo
	s_waitcnt vmcnt(0)
	global_store_b32 v[0:1], v5, off
.LBB13_2:
	s_nop 0
	s_sendmsg sendmsg(MSG_DEALLOC_VGPRS)
	s_endpgm
	.section	.rodata,"a",@progbits
	.p2align	6, 0x0
	.amdhsa_kernel _ZL19rocblas_copy_kernelIlLi256EPKPfS2_EviT1_lT_lT2_lS4_li
		.amdhsa_group_segment_fixed_size 0
		.amdhsa_private_segment_fixed_size 0
		.amdhsa_kernarg_size 76
		.amdhsa_user_sgpr_count 14
		.amdhsa_user_sgpr_dispatch_ptr 0
		.amdhsa_user_sgpr_queue_ptr 0
		.amdhsa_user_sgpr_kernarg_segment_ptr 1
		.amdhsa_user_sgpr_dispatch_id 0
		.amdhsa_user_sgpr_private_segment_size 0
		.amdhsa_wavefront_size32 1
		.amdhsa_uses_dynamic_stack 0
		.amdhsa_enable_private_segment 0
		.amdhsa_system_sgpr_workgroup_id_x 1
		.amdhsa_system_sgpr_workgroup_id_y 0
		.amdhsa_system_sgpr_workgroup_id_z 1
		.amdhsa_system_sgpr_workgroup_info 0
		.amdhsa_system_vgpr_workitem_id 0
		.amdhsa_next_free_vgpr 6
		.amdhsa_next_free_sgpr 16
		.amdhsa_reserve_vcc 1
		.amdhsa_float_round_mode_32 0
		.amdhsa_float_round_mode_16_64 0
		.amdhsa_float_denorm_mode_32 3
		.amdhsa_float_denorm_mode_16_64 3
		.amdhsa_dx10_clamp 1
		.amdhsa_ieee_mode 1
		.amdhsa_fp16_overflow 0
		.amdhsa_workgroup_processor_mode 1
		.amdhsa_memory_ordered 1
		.amdhsa_forward_progress 0
		.amdhsa_shared_vgpr_count 0
		.amdhsa_exception_fp_ieee_invalid_op 0
		.amdhsa_exception_fp_denorm_src 0
		.amdhsa_exception_fp_ieee_div_zero 0
		.amdhsa_exception_fp_ieee_overflow 0
		.amdhsa_exception_fp_ieee_underflow 0
		.amdhsa_exception_fp_ieee_inexact 0
		.amdhsa_exception_int_div_zero 0
	.end_amdhsa_kernel
	.section	.text._ZL19rocblas_copy_kernelIlLi256EPKPfS2_EviT1_lT_lT2_lS4_li,"axG",@progbits,_ZL19rocblas_copy_kernelIlLi256EPKPfS2_EviT1_lT_lT2_lS4_li,comdat
.Lfunc_end13:
	.size	_ZL19rocblas_copy_kernelIlLi256EPKPfS2_EviT1_lT_lT2_lS4_li, .Lfunc_end13-_ZL19rocblas_copy_kernelIlLi256EPKPfS2_EviT1_lT_lT2_lS4_li
                                        ; -- End function
	.section	.AMDGPU.csdata,"",@progbits
; Kernel info:
; codeLenInByte = 292
; NumSgprs: 18
; NumVgprs: 6
; ScratchSize: 0
; MemoryBound: 0
; FloatMode: 240
; IeeeMode: 1
; LDSByteSize: 0 bytes/workgroup (compile time only)
; SGPRBlocks: 2
; VGPRBlocks: 0
; NumSGPRsForWavesPerEU: 18
; NumVGPRsForWavesPerEU: 6
; Occupancy: 16
; WaveLimiterHint : 1
; COMPUTE_PGM_RSRC2:SCRATCH_EN: 0
; COMPUTE_PGM_RSRC2:USER_SGPR: 14
; COMPUTE_PGM_RSRC2:TRAP_HANDLER: 0
; COMPUTE_PGM_RSRC2:TGID_X_EN: 1
; COMPUTE_PGM_RSRC2:TGID_Y_EN: 0
; COMPUTE_PGM_RSRC2:TGID_Z_EN: 1
; COMPUTE_PGM_RSRC2:TIDIG_COMP_CNT: 0
	.section	.text._ZL22rocblas_scopy_2_kernelILi256EPKPfS2_EviT0_llT1_lli,"axG",@progbits,_ZL22rocblas_scopy_2_kernelILi256EPKPfS2_EviT0_llT1_lli,comdat
	.globl	_ZL22rocblas_scopy_2_kernelILi256EPKPfS2_EviT0_llT1_lli ; -- Begin function _ZL22rocblas_scopy_2_kernelILi256EPKPfS2_EviT0_llT1_lli
	.p2align	8
	.type	_ZL22rocblas_scopy_2_kernelILi256EPKPfS2_EviT0_llT1_lli,@function
_ZL22rocblas_scopy_2_kernelILi256EPKPfS2_EviT0_llT1_lli: ; @_ZL22rocblas_scopy_2_kernelILi256EPKPfS2_EviT0_llT1_lli
; %bb.0:
	s_load_b128 s[4:7], s[0:1], 0x8
	s_mov_b32 s2, s15
	s_mov_b32 s3, 0
	v_dual_mov_b32 v3, 0 :: v_dual_lshlrev_b32 v0, 1, v0
	s_lshl_b64 s[12:13], s[2:3], 3
	s_delay_alu instid0(VALU_DEP_1) | instskip(NEXT) | instid1(VALU_DEP_1)
	v_lshl_or_b32 v2, s14, 9, v0
	v_lshlrev_b64 v[0:1], 2, v[2:3]
	s_waitcnt lgkmcnt(0)
	s_add_u32 s2, s4, s12
	s_addc_u32 s3, s5, s13
	s_lshl_b64 s[4:5], s[6:7], 2
	s_load_b64 s[2:3], s[2:3], 0x0
	s_load_b128 s[8:11], s[0:1], 0x20
	s_mov_b32 s7, exec_lo
	s_waitcnt lgkmcnt(0)
	s_add_u32 s2, s2, s4
	s_addc_u32 s3, s3, s5
	s_add_u32 s4, s8, s12
	s_addc_u32 s5, s9, s13
	s_load_b64 s[4:5], s[4:5], 0x0
	s_load_b32 s6, s[0:1], 0x0
	s_lshl_b64 s[0:1], s[10:11], 2
	s_waitcnt lgkmcnt(0)
	s_add_u32 s4, s4, s0
	s_addc_u32 s5, s5, s1
	s_add_i32 s0, s6, -1
	s_delay_alu instid0(SALU_CYCLE_1) | instskip(NEXT) | instid1(SALU_CYCLE_1)
	s_ashr_i32 s1, s0, 31
	v_cmpx_gt_i64_e64 s[0:1], v[2:3]
	s_cbranch_execz .LBB14_2
; %bb.1:
	v_add_co_u32 v4, vcc_lo, s2, v0
	v_add_co_ci_u32_e32 v5, vcc_lo, s3, v1, vcc_lo
	v_add_co_u32 v6, vcc_lo, s4, v0
	v_add_co_ci_u32_e32 v7, vcc_lo, s5, v1, vcc_lo
	global_load_b32 v8, v[4:5], off
	s_waitcnt vmcnt(0)
	global_store_b32 v[6:7], v8, off
	global_load_b32 v4, v[4:5], off offset:4
	s_waitcnt vmcnt(0)
	global_store_b32 v[6:7], v4, off offset:4
.LBB14_2:
	s_or_b32 exec_lo, exec_lo, s7
	v_cmp_eq_u64_e32 vcc_lo, s[0:1], v[2:3]
	s_bitcmp1_b32 s6, 0
	s_cselect_b32 s0, -1, 0
	s_delay_alu instid0(SALU_CYCLE_1) | instskip(NEXT) | instid1(SALU_CYCLE_1)
	s_and_b32 s0, s0, vcc_lo
	s_and_saveexec_b32 s1, s0
	s_cbranch_execz .LBB14_4
; %bb.3:
	v_add_co_u32 v2, vcc_lo, s2, v0
	v_add_co_ci_u32_e32 v3, vcc_lo, s3, v1, vcc_lo
	v_add_co_u32 v0, vcc_lo, s4, v0
	v_add_co_ci_u32_e32 v1, vcc_lo, s5, v1, vcc_lo
	global_load_b32 v2, v[2:3], off
	s_waitcnt vmcnt(0)
	global_store_b32 v[0:1], v2, off
.LBB14_4:
	s_nop 0
	s_sendmsg sendmsg(MSG_DEALLOC_VGPRS)
	s_endpgm
	.section	.rodata,"a",@progbits
	.p2align	6, 0x0
	.amdhsa_kernel _ZL22rocblas_scopy_2_kernelILi256EPKPfS2_EviT0_llT1_lli
		.amdhsa_group_segment_fixed_size 0
		.amdhsa_private_segment_fixed_size 0
		.amdhsa_kernarg_size 60
		.amdhsa_user_sgpr_count 14
		.amdhsa_user_sgpr_dispatch_ptr 0
		.amdhsa_user_sgpr_queue_ptr 0
		.amdhsa_user_sgpr_kernarg_segment_ptr 1
		.amdhsa_user_sgpr_dispatch_id 0
		.amdhsa_user_sgpr_private_segment_size 0
		.amdhsa_wavefront_size32 1
		.amdhsa_uses_dynamic_stack 0
		.amdhsa_enable_private_segment 0
		.amdhsa_system_sgpr_workgroup_id_x 1
		.amdhsa_system_sgpr_workgroup_id_y 0
		.amdhsa_system_sgpr_workgroup_id_z 1
		.amdhsa_system_sgpr_workgroup_info 0
		.amdhsa_system_vgpr_workitem_id 0
		.amdhsa_next_free_vgpr 9
		.amdhsa_next_free_sgpr 16
		.amdhsa_reserve_vcc 1
		.amdhsa_float_round_mode_32 0
		.amdhsa_float_round_mode_16_64 0
		.amdhsa_float_denorm_mode_32 3
		.amdhsa_float_denorm_mode_16_64 3
		.amdhsa_dx10_clamp 1
		.amdhsa_ieee_mode 1
		.amdhsa_fp16_overflow 0
		.amdhsa_workgroup_processor_mode 1
		.amdhsa_memory_ordered 1
		.amdhsa_forward_progress 0
		.amdhsa_shared_vgpr_count 0
		.amdhsa_exception_fp_ieee_invalid_op 0
		.amdhsa_exception_fp_denorm_src 0
		.amdhsa_exception_fp_ieee_div_zero 0
		.amdhsa_exception_fp_ieee_overflow 0
		.amdhsa_exception_fp_ieee_underflow 0
		.amdhsa_exception_fp_ieee_inexact 0
		.amdhsa_exception_int_div_zero 0
	.end_amdhsa_kernel
	.section	.text._ZL22rocblas_scopy_2_kernelILi256EPKPfS2_EviT0_llT1_lli,"axG",@progbits,_ZL22rocblas_scopy_2_kernelILi256EPKPfS2_EviT0_llT1_lli,comdat
.Lfunc_end14:
	.size	_ZL22rocblas_scopy_2_kernelILi256EPKPfS2_EviT0_llT1_lli, .Lfunc_end14-_ZL22rocblas_scopy_2_kernelILi256EPKPfS2_EviT0_llT1_lli
                                        ; -- End function
	.section	.AMDGPU.csdata,"",@progbits
; Kernel info:
; codeLenInByte = 312
; NumSgprs: 18
; NumVgprs: 9
; ScratchSize: 0
; MemoryBound: 0
; FloatMode: 240
; IeeeMode: 1
; LDSByteSize: 0 bytes/workgroup (compile time only)
; SGPRBlocks: 2
; VGPRBlocks: 1
; NumSGPRsForWavesPerEU: 18
; NumVGPRsForWavesPerEU: 9
; Occupancy: 16
; WaveLimiterHint : 1
; COMPUTE_PGM_RSRC2:SCRATCH_EN: 0
; COMPUTE_PGM_RSRC2:USER_SGPR: 14
; COMPUTE_PGM_RSRC2:TRAP_HANDLER: 0
; COMPUTE_PGM_RSRC2:TGID_X_EN: 1
; COMPUTE_PGM_RSRC2:TGID_Y_EN: 0
; COMPUTE_PGM_RSRC2:TGID_Z_EN: 1
; COMPUTE_PGM_RSRC2:TIDIG_COMP_CNT: 0
	.section	.text._ZL19rocblas_copy_kernelIiLi256EPKPfS2_EviT1_lT_lT2_lS4_li,"axG",@progbits,_ZL19rocblas_copy_kernelIiLi256EPKPfS2_EviT1_lT_lT2_lS4_li,comdat
	.globl	_ZL19rocblas_copy_kernelIiLi256EPKPfS2_EviT1_lT_lT2_lS4_li ; -- Begin function _ZL19rocblas_copy_kernelIiLi256EPKPfS2_EviT1_lT_lT2_lS4_li
	.p2align	8
	.type	_ZL19rocblas_copy_kernelIiLi256EPKPfS2_EviT1_lT_lT2_lS4_li,@function
_ZL19rocblas_copy_kernelIiLi256EPKPfS2_EviT1_lT_lT2_lS4_li: ; @_ZL19rocblas_copy_kernelIiLi256EPKPfS2_EviT1_lT_lT2_lS4_li
; %bb.0:
	s_load_b32 s4, s[0:1], 0x0
	v_lshl_or_b32 v0, s14, 8, v0
	v_mov_b32_e32 v1, 0
	s_mov_b32 s3, exec_lo
	s_waitcnt lgkmcnt(0)
	s_ashr_i32 s5, s4, 31
	s_delay_alu instid0(VALU_DEP_1) | instid1(SALU_CYCLE_1)
	v_cmpx_gt_i64_e64 s[4:5], v[0:1]
	s_cbranch_execz .LBB15_2
; %bb.1:
	s_clause 0x2
	s_load_b32 s10, s[0:1], 0x18
	s_load_b32 s11, s[0:1], 0x38
	s_load_b128 s[4:7], s[0:1], 0x28
	s_mov_b32 s2, s15
	s_mov_b32 s3, 0
	s_delay_alu instid0(SALU_CYCLE_1)
	s_lshl_b64 s[8:9], s[2:3], 3
	s_waitcnt lgkmcnt(0)
	s_ashr_i32 s12, s10, 31
	s_ashr_i32 s13, s11, 31
	s_add_u32 s2, s4, s8
	s_addc_u32 s3, s5, s9
	s_lshl_b64 s[6:7], s[6:7], 2
	s_load_b64 s[4:5], s[2:3], 0x0
	s_load_b128 s[0:3], s[0:1], 0x8
	v_mad_u64_u32 v[1:2], null, s10, v0, 0
	s_delay_alu instid0(VALU_DEP_1) | instskip(NEXT) | instid1(VALU_DEP_1)
	v_mad_u64_u32 v[3:4], null, s12, v0, v[2:3]
	v_mov_b32_e32 v2, v3
	s_waitcnt lgkmcnt(0)
	s_add_u32 s4, s4, s6
	s_addc_u32 s5, s5, s7
	s_add_u32 s0, s0, s8
	s_addc_u32 s1, s1, s9
	v_lshlrev_b64 v[1:2], 2, v[1:2]
	s_load_b64 s[0:1], s[0:1], 0x0
	s_lshl_b64 s[2:3], s[2:3], 2
	s_waitcnt lgkmcnt(0)
	s_add_u32 s0, s0, s2
	s_addc_u32 s1, s1, s3
	v_add_co_u32 v1, vcc_lo, s0, v1
	v_add_co_ci_u32_e32 v2, vcc_lo, s1, v2, vcc_lo
	global_load_b32 v5, v[1:2], off
	v_mad_u64_u32 v[1:2], null, s11, v0, 0
	s_delay_alu instid0(VALU_DEP_1) | instskip(NEXT) | instid1(VALU_DEP_1)
	v_mad_u64_u32 v[3:4], null, s13, v0, v[2:3]
	v_mov_b32_e32 v2, v3
	s_delay_alu instid0(VALU_DEP_1) | instskip(NEXT) | instid1(VALU_DEP_1)
	v_lshlrev_b64 v[0:1], 2, v[1:2]
	v_add_co_u32 v0, vcc_lo, s4, v0
	s_delay_alu instid0(VALU_DEP_2)
	v_add_co_ci_u32_e32 v1, vcc_lo, s5, v1, vcc_lo
	s_waitcnt vmcnt(0)
	global_store_b32 v[0:1], v5, off
.LBB15_2:
	s_nop 0
	s_sendmsg sendmsg(MSG_DEALLOC_VGPRS)
	s_endpgm
	.section	.rodata,"a",@progbits
	.p2align	6, 0x0
	.amdhsa_kernel _ZL19rocblas_copy_kernelIiLi256EPKPfS2_EviT1_lT_lT2_lS4_li
		.amdhsa_group_segment_fixed_size 0
		.amdhsa_private_segment_fixed_size 0
		.amdhsa_kernarg_size 76
		.amdhsa_user_sgpr_count 14
		.amdhsa_user_sgpr_dispatch_ptr 0
		.amdhsa_user_sgpr_queue_ptr 0
		.amdhsa_user_sgpr_kernarg_segment_ptr 1
		.amdhsa_user_sgpr_dispatch_id 0
		.amdhsa_user_sgpr_private_segment_size 0
		.amdhsa_wavefront_size32 1
		.amdhsa_uses_dynamic_stack 0
		.amdhsa_enable_private_segment 0
		.amdhsa_system_sgpr_workgroup_id_x 1
		.amdhsa_system_sgpr_workgroup_id_y 0
		.amdhsa_system_sgpr_workgroup_id_z 1
		.amdhsa_system_sgpr_workgroup_info 0
		.amdhsa_system_vgpr_workitem_id 0
		.amdhsa_next_free_vgpr 6
		.amdhsa_next_free_sgpr 16
		.amdhsa_reserve_vcc 1
		.amdhsa_float_round_mode_32 0
		.amdhsa_float_round_mode_16_64 0
		.amdhsa_float_denorm_mode_32 3
		.amdhsa_float_denorm_mode_16_64 3
		.amdhsa_dx10_clamp 1
		.amdhsa_ieee_mode 1
		.amdhsa_fp16_overflow 0
		.amdhsa_workgroup_processor_mode 1
		.amdhsa_memory_ordered 1
		.amdhsa_forward_progress 0
		.amdhsa_shared_vgpr_count 0
		.amdhsa_exception_fp_ieee_invalid_op 0
		.amdhsa_exception_fp_denorm_src 0
		.amdhsa_exception_fp_ieee_div_zero 0
		.amdhsa_exception_fp_ieee_overflow 0
		.amdhsa_exception_fp_ieee_underflow 0
		.amdhsa_exception_fp_ieee_inexact 0
		.amdhsa_exception_int_div_zero 0
	.end_amdhsa_kernel
	.section	.text._ZL19rocblas_copy_kernelIiLi256EPKPfS2_EviT1_lT_lT2_lS4_li,"axG",@progbits,_ZL19rocblas_copy_kernelIiLi256EPKPfS2_EviT1_lT_lT2_lS4_li,comdat
.Lfunc_end15:
	.size	_ZL19rocblas_copy_kernelIiLi256EPKPfS2_EviT1_lT_lT2_lS4_li, .Lfunc_end15-_ZL19rocblas_copy_kernelIiLi256EPKPfS2_EviT1_lT_lT2_lS4_li
                                        ; -- End function
	.section	.AMDGPU.csdata,"",@progbits
; Kernel info:
; codeLenInByte = 304
; NumSgprs: 18
; NumVgprs: 6
; ScratchSize: 0
; MemoryBound: 0
; FloatMode: 240
; IeeeMode: 1
; LDSByteSize: 0 bytes/workgroup (compile time only)
; SGPRBlocks: 2
; VGPRBlocks: 0
; NumSGPRsForWavesPerEU: 18
; NumVGPRsForWavesPerEU: 6
; Occupancy: 16
; WaveLimiterHint : 1
; COMPUTE_PGM_RSRC2:SCRATCH_EN: 0
; COMPUTE_PGM_RSRC2:USER_SGPR: 14
; COMPUTE_PGM_RSRC2:TRAP_HANDLER: 0
; COMPUTE_PGM_RSRC2:TGID_X_EN: 1
; COMPUTE_PGM_RSRC2:TGID_Y_EN: 0
; COMPUTE_PGM_RSRC2:TGID_Z_EN: 1
; COMPUTE_PGM_RSRC2:TIDIG_COMP_CNT: 0
	.section	.text._ZL20rocblas_tbmvx_kernelILi64ELi16EPKPKfPKPfEv18rocblas_operation_bbiiT1_lllS8_T2_llli,"axG",@progbits,_ZL20rocblas_tbmvx_kernelILi64ELi16EPKPKfPKPfEv18rocblas_operation_bbiiT1_lllS8_T2_llli,comdat
	.globl	_ZL20rocblas_tbmvx_kernelILi64ELi16EPKPKfPKPfEv18rocblas_operation_bbiiT1_lllS8_T2_llli ; -- Begin function _ZL20rocblas_tbmvx_kernelILi64ELi16EPKPKfPKPfEv18rocblas_operation_bbiiT1_lllS8_T2_llli
	.p2align	8
	.type	_ZL20rocblas_tbmvx_kernelILi64ELi16EPKPKfPKPfEv18rocblas_operation_bbiiT1_lllS8_T2_llli,@function
_ZL20rocblas_tbmvx_kernelILi64ELi16EPKPKfPKPfEv18rocblas_operation_bbiiT1_lllS8_T2_llli: ; @_ZL20rocblas_tbmvx_kernelILi64ELi16EPKPKfPKPfEv18rocblas_operation_bbiiT1_lllS8_T2_llli
; %bb.0:
	s_load_b64 s[4:5], s[0:1], 0x6c
	s_waitcnt lgkmcnt(0)
	s_lshr_b32 s3, s4, 16
	s_and_b32 s24, s4, 0xffff
	s_and_b32 s4, s5, 0xffff
	s_mul_i32 s3, s3, s24
	s_delay_alu instid0(SALU_CYCLE_1) | instskip(NEXT) | instid1(SALU_CYCLE_1)
	s_mul_i32 s3, s3, s4
	s_cmpk_lg_i32 s3, 0x400
	s_cbranch_scc1 .LBB16_60
; %bb.1:
	s_clause 0x3
	s_load_b64 s[26:27], s[0:1], 0x0
	s_load_b128 s[16:19], s[0:1], 0x4
	s_load_b128 s[20:23], s[0:1], 0x10
	s_load_b256 s[4:11], s[0:1], 0x30
	s_mov_b32 s2, s15
	s_mov_b32 s3, 0
	s_load_b64 s[12:13], s[0:1], 0x20
	v_and_b32_e32 v1, 0x3ff, v0
	v_bfe_u32 v0, v0, 10, 10
	s_delay_alu instid0(VALU_DEP_1) | instskip(NEXT) | instid1(VALU_DEP_1)
	v_mad_u32_u24 v9, v0, s24, v1
	v_and_b32_e32 v10, 63, v9
	v_lshrrev_b32_e32 v0, 6, v9
	s_waitcnt lgkmcnt(0)
	s_bitcmp1_b32 s27, 0
	s_cselect_b32 s15, -1, 0
	s_bitcmp1_b32 s16, 8
	s_cselect_b32 s16, -1, 0
	s_lshl_b64 s[0:1], s[2:3], 3
	s_delay_alu instid0(SALU_CYCLE_1)
	s_add_u32 s2, s20, s0
	s_addc_u32 s3, s21, s1
	s_add_u32 s4, s4, s0
	s_addc_u32 s5, s5, s1
	;; [unrolled: 2-line block ×3, first 2 shown]
	s_load_b64 s[20:21], s[2:3], 0x0
	s_load_b64 s[4:5], s[4:5], 0x0
	;; [unrolled: 1-line block ×3, first 2 shown]
	s_lshl_b32 s14, s14, 6
	s_cmpk_lg_i32 s26, 0x6f
	v_or_b32_e32 v2, s14, v10
	s_mov_b32 s0, -1
	s_cbranch_scc0 .LBB16_32
; %bb.2:
	v_mov_b32_e32 v1, 0
	v_cmp_ge_i32_e64 s0, s18, v0
	s_delay_alu instid0(VALU_DEP_2) | instskip(NEXT) | instid1(VALU_DEP_2)
	v_cmp_gt_i64_e32 vcc_lo, s[12:13], v[0:1]
	s_and_b32 s0, s0, vcc_lo
	s_delay_alu instid0(SALU_CYCLE_1)
	s_and_saveexec_b32 s6, s0
	s_cbranch_execz .LBB16_31
; %bb.3:
	v_ashrrev_i32_e32 v3, 31, v2
	v_mul_lo_u32 v6, v2, s13
	v_mad_u64_u32 v[4:5], null, v2, s12, 0
	s_lshl_b64 s[24:25], s[22:23], 2
	s_delay_alu instid0(VALU_DEP_3)
	v_mul_lo_u32 v7, v3, s12
	s_xor_b32 s7, s15, -1
	s_xor_b32 s19, s16, -1
	v_mov_b32_e32 v15, 0
	s_waitcnt lgkmcnt(0)
	s_add_u32 s1, s20, s24
	s_addc_u32 s24, s21, s25
	v_cmp_gt_i32_e64 s0, s17, v2
	v_xad_u32 v11, v2, -1, s17
	v_add3_u32 v5, v5, v6, v7
	v_lshlrev_b64 v[6:7], 2, v[2:3]
	v_sub_nc_u32_e32 v12, s18, v2
	s_delay_alu instid0(VALU_DEP_3) | instskip(NEXT) | instid1(VALU_DEP_3)
	v_lshlrev_b64 v[13:14], 2, v[4:5]
	v_add_co_u32 v3, vcc_lo, s4, v6
	s_delay_alu instid0(VALU_DEP_4) | instskip(SKIP_1) | instid1(VALU_DEP_4)
	v_add_co_ci_u32_e32 v4, vcc_lo, s5, v7, vcc_lo
	v_mov_b32_e32 v8, v1
	v_add_co_u32 v5, vcc_lo, s1, v13
	v_add_co_ci_u32_e32 v6, vcc_lo, s24, v14, vcc_lo
	v_mov_b32_e32 v7, v0
	v_mov_b32_e32 v1, v15
	s_mov_b32 s24, 0
	s_branch .LBB16_9
.LBB16_4:                               ;   in Loop: Header=BB16_9 Depth=1
	s_delay_alu instid0(VALU_DEP_1)
	v_mov_b32_e32 v1, v8
.LBB16_5:                               ;   in Loop: Header=BB16_9 Depth=1
	s_or_b32 exec_lo, exec_lo, s26
.LBB16_6:                               ;   in Loop: Header=BB16_9 Depth=1
	s_delay_alu instid0(SALU_CYCLE_1) | instskip(NEXT) | instid1(VALU_DEP_1)
	s_or_b32 exec_lo, exec_lo, s1
	v_mov_b32_e32 v13, v1
.LBB16_7:                               ;   in Loop: Header=BB16_9 Depth=1
	s_delay_alu instid0(VALU_DEP_1)
	v_mov_b32_e32 v1, v13
.LBB16_8:                               ;   in Loop: Header=BB16_9 Depth=1
	s_or_b32 exec_lo, exec_lo, s25
	v_add_nc_u32_e32 v7, 16, v7
	s_delay_alu instid0(VALU_DEP_1) | instskip(SKIP_1) | instid1(VALU_DEP_2)
	v_ashrrev_i32_e32 v8, 31, v7
	v_cmp_lt_i32_e64 s1, s18, v7
	v_cmp_le_i64_e32 vcc_lo, s[12:13], v[7:8]
	s_delay_alu instid0(VALU_DEP_2) | instskip(NEXT) | instid1(SALU_CYCLE_1)
	s_or_b32 s1, s1, vcc_lo
	s_and_b32 s1, exec_lo, s1
	s_delay_alu instid0(SALU_CYCLE_1) | instskip(NEXT) | instid1(SALU_CYCLE_1)
	s_or_b32 s24, s1, s24
	s_and_not1_b32 exec_lo, exec_lo, s24
	s_cbranch_execz .LBB16_30
.LBB16_9:                               ; =>This Inner Loop Header: Depth=1
	s_and_saveexec_b32 s25, s0
	s_cbranch_execz .LBB16_8
; %bb.10:                               ;   in Loop: Header=BB16_9 Depth=1
	s_and_b32 vcc_lo, exec_lo, s7
	s_cbranch_vccz .LBB16_15
; %bb.11:                               ;   in Loop: Header=BB16_9 Depth=1
	v_cmp_gt_i64_e32 vcc_lo, 1, v[7:8]
	v_cmp_lt_i32_e64 s1, v11, v7
                                        ; implicit-def: $vgpr13
	s_delay_alu instid0(VALU_DEP_1) | instskip(NEXT) | instid1(SALU_CYCLE_1)
	s_or_b32 s1, vcc_lo, s1
	s_and_saveexec_b32 s26, s1
	s_delay_alu instid0(SALU_CYCLE_1)
	s_xor_b32 s1, exec_lo, s26
	s_cbranch_execz .LBB16_19
; %bb.12:                               ;   in Loop: Header=BB16_9 Depth=1
	v_mov_b32_e32 v13, v1
	s_mov_b32 s26, exec_lo
	v_cmpx_eq_u64_e32 0, v[7:8]
	s_cbranch_execz .LBB16_18
; %bb.13:                               ;   in Loop: Header=BB16_9 Depth=1
	s_and_b32 vcc_lo, exec_lo, s19
	s_cbranch_vccz .LBB16_16
; %bb.14:                               ;   in Loop: Header=BB16_9 Depth=1
	global_load_b32 v13, v[5:6], off
	global_load_b32 v14, v[3:4], off
	s_waitcnt vmcnt(0)
	v_fma_f32 v13, v13, v14, v1
	s_cbranch_execz .LBB16_17
	s_branch .LBB16_18
.LBB16_15:                              ;   in Loop: Header=BB16_9 Depth=1
                                        ; implicit-def: $vgpr13
	s_branch .LBB16_22
.LBB16_16:                              ;   in Loop: Header=BB16_9 Depth=1
                                        ; implicit-def: $vgpr13
.LBB16_17:                              ;   in Loop: Header=BB16_9 Depth=1
	global_load_b32 v13, v[3:4], off
	s_waitcnt vmcnt(0)
	v_add_f32_e32 v13, v1, v13
.LBB16_18:                              ;   in Loop: Header=BB16_9 Depth=1
	s_or_b32 exec_lo, exec_lo, s26
.LBB16_19:                              ;   in Loop: Header=BB16_9 Depth=1
	s_and_not1_saveexec_b32 s1, s1
	s_cbranch_execz .LBB16_21
; %bb.20:                               ;   in Loop: Header=BB16_9 Depth=1
	v_add_nc_u32_e32 v13, v2, v7
	v_lshlrev_b64 v[15:16], 2, v[7:8]
	s_delay_alu instid0(VALU_DEP_2) | instskip(NEXT) | instid1(VALU_DEP_2)
	v_ashrrev_i32_e32 v14, 31, v13
	v_add_co_u32 v15, vcc_lo, v5, v15
	s_delay_alu instid0(VALU_DEP_3) | instskip(NEXT) | instid1(VALU_DEP_3)
	v_add_co_ci_u32_e32 v16, vcc_lo, v6, v16, vcc_lo
	v_lshlrev_b64 v[13:14], 2, v[13:14]
	s_delay_alu instid0(VALU_DEP_1) | instskip(NEXT) | instid1(VALU_DEP_2)
	v_add_co_u32 v13, vcc_lo, s4, v13
	v_add_co_ci_u32_e32 v14, vcc_lo, s5, v14, vcc_lo
	global_load_b32 v15, v[15:16], off
	global_load_b32 v13, v[13:14], off
	s_waitcnt vmcnt(0)
	v_fma_f32 v13, v15, v13, v1
.LBB16_21:                              ;   in Loop: Header=BB16_9 Depth=1
	s_or_b32 exec_lo, exec_lo, s1
	s_cbranch_execnz .LBB16_7
.LBB16_22:                              ;   in Loop: Header=BB16_9 Depth=1
	v_cmp_gt_i32_e32 vcc_lo, s18, v7
	v_cmp_ge_i32_e64 s1, v7, v12
	s_delay_alu instid0(VALU_DEP_1) | instskip(NEXT) | instid1(SALU_CYCLE_1)
	s_and_b32 s1, vcc_lo, s1
	s_and_saveexec_b32 s26, s1
	s_delay_alu instid0(SALU_CYCLE_1)
	s_xor_b32 s1, exec_lo, s26
	s_cbranch_execz .LBB16_24
; %bb.23:                               ;   in Loop: Header=BB16_9 Depth=1
	v_sub_nc_u32_e32 v13, v7, v12
	v_lshlrev_b64 v[15:16], 2, v[7:8]
	s_delay_alu instid0(VALU_DEP_2) | instskip(NEXT) | instid1(VALU_DEP_2)
	v_ashrrev_i32_e32 v14, 31, v13
	v_add_co_u32 v15, vcc_lo, v5, v15
	s_delay_alu instid0(VALU_DEP_3) | instskip(NEXT) | instid1(VALU_DEP_3)
	v_add_co_ci_u32_e32 v16, vcc_lo, v6, v16, vcc_lo
	v_lshlrev_b64 v[13:14], 2, v[13:14]
	s_delay_alu instid0(VALU_DEP_1) | instskip(NEXT) | instid1(VALU_DEP_2)
	v_add_co_u32 v13, vcc_lo, s4, v13
	v_add_co_ci_u32_e32 v14, vcc_lo, s5, v14, vcc_lo
	global_load_b32 v15, v[15:16], off
	global_load_b32 v13, v[13:14], off
	s_waitcnt vmcnt(0)
	v_fmac_f32_e32 v1, v15, v13
.LBB16_24:                              ;   in Loop: Header=BB16_9 Depth=1
	s_and_not1_saveexec_b32 s1, s1
	s_cbranch_execz .LBB16_6
; %bb.25:                               ;   in Loop: Header=BB16_9 Depth=1
	s_mov_b32 s26, exec_lo
	v_cmpx_eq_u32_e64 s18, v7
	s_cbranch_execz .LBB16_5
; %bb.26:                               ;   in Loop: Header=BB16_9 Depth=1
	s_and_b32 vcc_lo, exec_lo, s19
	s_cbranch_vccz .LBB16_28
; %bb.27:                               ;   in Loop: Header=BB16_9 Depth=1
	v_lshlrev_b64 v[13:14], 2, v[7:8]
	s_delay_alu instid0(VALU_DEP_1) | instskip(NEXT) | instid1(VALU_DEP_2)
	v_add_co_u32 v13, vcc_lo, v5, v13
	v_add_co_ci_u32_e32 v14, vcc_lo, v6, v14, vcc_lo
	global_load_b32 v8, v[13:14], off
	global_load_b32 v13, v[3:4], off
	s_waitcnt vmcnt(0)
	v_fma_f32 v8, v8, v13, v1
	s_cbranch_execnz .LBB16_4
	s_branch .LBB16_29
.LBB16_28:                              ;   in Loop: Header=BB16_9 Depth=1
                                        ; implicit-def: $vgpr8
.LBB16_29:                              ;   in Loop: Header=BB16_9 Depth=1
	global_load_b32 v8, v[3:4], off
	s_waitcnt vmcnt(0)
	v_add_f32_e32 v8, v1, v8
	s_branch .LBB16_4
.LBB16_30:
	s_or_b32 exec_lo, exec_lo, s24
.LBB16_31:
	s_delay_alu instid0(SALU_CYCLE_1)
	s_or_b32 exec_lo, exec_lo, s6
	s_mov_b32 s0, 0
.LBB16_32:
	s_delay_alu instid0(SALU_CYCLE_1)
	s_and_not1_b32 vcc_lo, exec_lo, s0
	s_cbranch_vccnz .LBB16_58
; %bb.33:
	v_mov_b32_e32 v1, 0
	s_mov_b32 s24, exec_lo
	v_cmpx_gt_i32_e64 s17, v0
	s_cbranch_execz .LBB16_57
; %bb.34:
	v_mad_u64_u32 v[6:7], null, s12, v0, 0
	s_and_b32 s0, s15, exec_lo
	v_cmp_gt_i32_e64 s0, s17, v2
	s_cselect_b32 s1, s18, 0
	s_and_b32 s6, s15, s16
	s_xor_b32 s7, s16, -1
	s_xor_b32 s16, s6, -1
	s_delay_alu instid0(VALU_DEP_2)
	v_dual_mov_b32 v1, v7 :: v_dual_lshlrev_b32 v2, 2, v0
	s_cmp_lg_u32 s18, 0
	v_add3_u32 v8, s1, s14, v10
	s_cselect_b32 s1, -1, 0
	v_mov_b32_e32 v3, 0
	v_mad_u64_u32 v[4:5], null, s13, v0, v[1:2]
	s_and_b32 s1, s1, s15
	s_ashr_i32 s19, s18, 31
	s_or_b32 s1, s1, s7
	s_delay_alu instid0(SALU_CYCLE_1) | instskip(NEXT) | instid1(VALU_DEP_1)
	s_xor_b32 s15, s1, -1
	v_mov_b32_e32 v7, v4
	s_waitcnt lgkmcnt(0)
	v_add_co_u32 v4, s4, s4, v2
	s_delay_alu instid0(VALU_DEP_1) | instskip(NEXT) | instid1(VALU_DEP_3)
	v_add_co_ci_u32_e64 v5, null, s5, 0, s4
	v_lshlrev_b64 v[1:2], 2, v[6:7]
	s_lshl_b64 s[4:5], s[22:23], 2
	s_delay_alu instid0(SALU_CYCLE_1) | instskip(SKIP_2) | instid1(VALU_DEP_1)
	s_add_u32 s1, s20, s4
	s_addc_u32 s4, s21, s5
	s_mov_b32 s20, 0
	v_add_co_u32 v6, vcc_lo, s1, v1
	v_add_co_ci_u32_e32 v7, vcc_lo, s4, v2, vcc_lo
	v_sub_nc_u32_e32 v2, v8, v0
	v_mov_b32_e32 v1, v3
	s_lshl_b64 s[4:5], s[12:13], 6
	s_lshl_b64 s[6:7], s[18:19], 2
	s_branch .LBB16_37
.LBB16_35:                              ;   in Loop: Header=BB16_37 Depth=1
	s_or_b32 exec_lo, exec_lo, s1
.LBB16_36:                              ;   in Loop: Header=BB16_37 Depth=1
	s_delay_alu instid0(SALU_CYCLE_1) | instskip(SKIP_3) | instid1(VALU_DEP_3)
	s_or_b32 exec_lo, exec_lo, s12
	v_add_nc_u32_e32 v0, 16, v0
	v_add_co_u32 v4, vcc_lo, v4, 64
	v_add_co_ci_u32_e32 v5, vcc_lo, 0, v5, vcc_lo
	v_cmp_le_i32_e32 vcc_lo, s17, v0
	v_add_co_u32 v6, s1, v6, s4
	s_delay_alu instid0(VALU_DEP_1) | instskip(SKIP_2) | instid1(SALU_CYCLE_1)
	v_add_co_ci_u32_e64 v7, s1, s5, v7, s1
	v_add_nc_u32_e32 v2, -16, v2
	s_or_b32 s20, vcc_lo, s20
	s_and_not1_b32 exec_lo, exec_lo, s20
	s_cbranch_execz .LBB16_56
.LBB16_37:                              ; =>This Inner Loop Header: Depth=1
	s_and_saveexec_b32 s12, s0
	s_cbranch_execz .LBB16_36
; %bb.38:                               ;   in Loop: Header=BB16_37 Depth=1
	v_cmp_le_i32_e32 vcc_lo, s18, v2
	v_cmp_gt_i32_e64 s1, 1, v2
	s_delay_alu instid0(VALU_DEP_1) | instskip(NEXT) | instid1(SALU_CYCLE_1)
	s_or_b32 s1, vcc_lo, s1
	s_and_saveexec_b32 s13, s1
	s_delay_alu instid0(SALU_CYCLE_1)
	s_xor_b32 s1, exec_lo, s13
	s_cbranch_execz .LBB16_54
; %bb.39:                               ;   in Loop: Header=BB16_37 Depth=1
	s_mov_b32 s13, exec_lo
	v_cmpx_ne_u32_e32 0, v2
	s_xor_b32 s13, exec_lo, s13
	s_cbranch_execz .LBB16_47
; %bb.40:                               ;   in Loop: Header=BB16_37 Depth=1
	s_mov_b32 s19, exec_lo
	v_cmpx_eq_u32_e64 s18, v2
	s_cbranch_execz .LBB16_46
; %bb.41:                               ;   in Loop: Header=BB16_37 Depth=1
	s_and_b32 vcc_lo, exec_lo, s16
	s_cbranch_vccz .LBB16_43
; %bb.42:                               ;   in Loop: Header=BB16_37 Depth=1
	v_add_co_u32 v10, vcc_lo, v6, s6
	v_add_co_ci_u32_e32 v11, vcc_lo, s7, v7, vcc_lo
	global_load_b32 v8, v[10:11], off
	global_load_b32 v10, v[4:5], off
	s_waitcnt vmcnt(0)
	v_fma_f32 v8, v8, v10, v1
	s_cbranch_execz .LBB16_44
	s_branch .LBB16_45
.LBB16_43:                              ;   in Loop: Header=BB16_37 Depth=1
                                        ; implicit-def: $vgpr8
.LBB16_44:                              ;   in Loop: Header=BB16_37 Depth=1
	global_load_b32 v8, v[4:5], off
	s_waitcnt vmcnt(0)
	v_add_f32_e32 v8, v1, v8
.LBB16_45:                              ;   in Loop: Header=BB16_37 Depth=1
	s_delay_alu instid0(VALU_DEP_1)
	v_mov_b32_e32 v1, v8
.LBB16_46:                              ;   in Loop: Header=BB16_37 Depth=1
	s_or_b32 exec_lo, exec_lo, s19
.LBB16_47:                              ;   in Loop: Header=BB16_37 Depth=1
	s_and_not1_saveexec_b32 s13, s13
	s_cbranch_execz .LBB16_53
; %bb.48:                               ;   in Loop: Header=BB16_37 Depth=1
	s_and_not1_b32 vcc_lo, exec_lo, s15
	s_cbranch_vccnz .LBB16_50
; %bb.49:                               ;   in Loop: Header=BB16_37 Depth=1
	global_load_b32 v8, v[4:5], off
	s_waitcnt vmcnt(0)
	v_add_f32_e32 v8, v1, v8
	s_cbranch_execz .LBB16_51
	s_branch .LBB16_52
.LBB16_50:                              ;   in Loop: Header=BB16_37 Depth=1
                                        ; implicit-def: $vgpr8
.LBB16_51:                              ;   in Loop: Header=BB16_37 Depth=1
	global_load_b32 v8, v[6:7], off
	global_load_b32 v10, v[4:5], off
	s_waitcnt vmcnt(0)
	v_fmac_f32_e32 v1, v8, v10
	s_delay_alu instid0(VALU_DEP_1)
	v_mov_b32_e32 v8, v1
.LBB16_52:                              ;   in Loop: Header=BB16_37 Depth=1
	s_delay_alu instid0(VALU_DEP_1)
	v_mov_b32_e32 v1, v8
.LBB16_53:                              ;   in Loop: Header=BB16_37 Depth=1
	s_or_b32 exec_lo, exec_lo, s13
.LBB16_54:                              ;   in Loop: Header=BB16_37 Depth=1
	s_and_not1_saveexec_b32 s1, s1
	s_cbranch_execz .LBB16_35
; %bb.55:                               ;   in Loop: Header=BB16_37 Depth=1
	v_lshlrev_b64 v[10:11], 2, v[2:3]
	s_delay_alu instid0(VALU_DEP_1) | instskip(NEXT) | instid1(VALU_DEP_2)
	v_add_co_u32 v10, vcc_lo, v6, v10
	v_add_co_ci_u32_e32 v11, vcc_lo, v7, v11, vcc_lo
	global_load_b32 v8, v[10:11], off
	global_load_b32 v10, v[4:5], off
	s_waitcnt vmcnt(0)
	v_fmac_f32_e32 v1, v8, v10
	s_branch .LBB16_35
.LBB16_56:
	s_or_b32 exec_lo, exec_lo, s20
.LBB16_57:
	s_delay_alu instid0(SALU_CYCLE_1)
	s_or_b32 exec_lo, exec_lo, s24
.LBB16_58:
	v_add_nc_u32_e32 v2, s14, v9
	v_cmp_gt_u32_e32 vcc_lo, 64, v9
	v_lshlrev_b32_e32 v0, 2, v9
	s_delay_alu instid0(VALU_DEP_3)
	v_cmp_gt_i32_e64 s0, s17, v2
	ds_store_b32 v0, v1
	s_waitcnt lgkmcnt(0)
	s_barrier
	s_and_b32 s0, vcc_lo, s0
	buffer_gl0_inv
	s_and_saveexec_b32 s1, s0
	s_cbranch_execz .LBB16_60
; %bb.59:
	ds_load_2addr_stride64_b32 v[3:4], v0 offset1:1
	ds_load_2addr_stride64_b32 v[5:6], v0 offset0:2 offset1:3
	ds_load_2addr_stride64_b32 v[7:8], v0 offset0:4 offset1:5
	;; [unrolled: 1-line block ×3, first 2 shown]
	v_mul_lo_u32 v11, v2, s11
	s_lshl_b64 s[0:1], s[8:9], 2
	s_delay_alu instid0(SALU_CYCLE_1)
	s_add_u32 s0, s2, s0
	s_addc_u32 s1, s3, s1
	s_waitcnt lgkmcnt(3)
	v_add_f32_e32 v1, v3, v4
	ds_load_2addr_stride64_b32 v[3:4], v0 offset0:8 offset1:9
	s_waitcnt lgkmcnt(3)
	v_add_f32_e32 v1, v5, v1
	s_delay_alu instid0(VALU_DEP_1) | instskip(SKIP_3) | instid1(VALU_DEP_1)
	v_add_f32_e32 v1, v6, v1
	ds_load_2addr_stride64_b32 v[5:6], v0 offset0:10 offset1:11
	s_waitcnt lgkmcnt(3)
	v_add_f32_e32 v1, v7, v1
	v_add_f32_e32 v1, v8, v1
	s_waitcnt lgkmcnt(2)
	s_delay_alu instid0(VALU_DEP_1) | instskip(NEXT) | instid1(VALU_DEP_1)
	v_add_f32_e32 v1, v9, v1
	v_add_f32_e32 v1, v10, v1
	ds_load_2addr_stride64_b32 v[7:8], v0 offset0:12 offset1:13
	ds_load_2addr_stride64_b32 v[9:10], v0 offset0:14 offset1:15
	s_waitcnt lgkmcnt(3)
	v_add_f32_e32 v1, v3, v1
	s_delay_alu instid0(VALU_DEP_1) | instskip(SKIP_2) | instid1(VALU_DEP_2)
	v_add_f32_e32 v1, v4, v1
	v_mad_u64_u32 v[3:4], null, v2, s10, 0
	s_waitcnt lgkmcnt(2)
	v_add_f32_e32 v1, v5, v1
	v_ashrrev_i32_e32 v5, 31, v2
	s_delay_alu instid0(VALU_DEP_2) | instskip(NEXT) | instid1(VALU_DEP_2)
	v_add_f32_e32 v1, v6, v1
	v_mul_lo_u32 v2, v5, s10
	s_waitcnt lgkmcnt(1)
	s_delay_alu instid0(VALU_DEP_2) | instskip(NEXT) | instid1(VALU_DEP_2)
	v_add_f32_e32 v1, v7, v1
	v_add3_u32 v4, v4, v11, v2
	s_delay_alu instid0(VALU_DEP_2) | instskip(SKIP_1) | instid1(VALU_DEP_1)
	v_add_f32_e32 v1, v8, v1
	s_waitcnt lgkmcnt(0)
	v_add_f32_e32 v5, v9, v1
	s_delay_alu instid0(VALU_DEP_3) | instskip(NEXT) | instid1(VALU_DEP_2)
	v_lshlrev_b64 v[1:2], 2, v[3:4]
	v_add_f32_e32 v3, v10, v5
	s_delay_alu instid0(VALU_DEP_2) | instskip(NEXT) | instid1(VALU_DEP_3)
	v_add_co_u32 v1, vcc_lo, s0, v1
	v_add_co_ci_u32_e32 v2, vcc_lo, s1, v2, vcc_lo
	ds_store_b32 v0, v3
	global_store_b32 v[1:2], v3, off
.LBB16_60:
	s_nop 0
	s_sendmsg sendmsg(MSG_DEALLOC_VGPRS)
	s_endpgm
	.section	.rodata,"a",@progbits
	.p2align	6, 0x0
	.amdhsa_kernel _ZL20rocblas_tbmvx_kernelILi64ELi16EPKPKfPKPfEv18rocblas_operation_bbiiT1_lllS8_T2_llli
		.amdhsa_group_segment_fixed_size 4096
		.amdhsa_private_segment_fixed_size 0
		.amdhsa_kernarg_size 352
		.amdhsa_user_sgpr_count 14
		.amdhsa_user_sgpr_dispatch_ptr 0
		.amdhsa_user_sgpr_queue_ptr 0
		.amdhsa_user_sgpr_kernarg_segment_ptr 1
		.amdhsa_user_sgpr_dispatch_id 0
		.amdhsa_user_sgpr_private_segment_size 0
		.amdhsa_wavefront_size32 1
		.amdhsa_uses_dynamic_stack 0
		.amdhsa_enable_private_segment 0
		.amdhsa_system_sgpr_workgroup_id_x 1
		.amdhsa_system_sgpr_workgroup_id_y 0
		.amdhsa_system_sgpr_workgroup_id_z 1
		.amdhsa_system_sgpr_workgroup_info 0
		.amdhsa_system_vgpr_workitem_id 1
		.amdhsa_next_free_vgpr 17
		.amdhsa_next_free_sgpr 28
		.amdhsa_reserve_vcc 1
		.amdhsa_float_round_mode_32 0
		.amdhsa_float_round_mode_16_64 0
		.amdhsa_float_denorm_mode_32 3
		.amdhsa_float_denorm_mode_16_64 3
		.amdhsa_dx10_clamp 1
		.amdhsa_ieee_mode 1
		.amdhsa_fp16_overflow 0
		.amdhsa_workgroup_processor_mode 1
		.amdhsa_memory_ordered 1
		.amdhsa_forward_progress 0
		.amdhsa_shared_vgpr_count 0
		.amdhsa_exception_fp_ieee_invalid_op 0
		.amdhsa_exception_fp_denorm_src 0
		.amdhsa_exception_fp_ieee_div_zero 0
		.amdhsa_exception_fp_ieee_overflow 0
		.amdhsa_exception_fp_ieee_underflow 0
		.amdhsa_exception_fp_ieee_inexact 0
		.amdhsa_exception_int_div_zero 0
	.end_amdhsa_kernel
	.section	.text._ZL20rocblas_tbmvx_kernelILi64ELi16EPKPKfPKPfEv18rocblas_operation_bbiiT1_lllS8_T2_llli,"axG",@progbits,_ZL20rocblas_tbmvx_kernelILi64ELi16EPKPKfPKPfEv18rocblas_operation_bbiiT1_lllS8_T2_llli,comdat
.Lfunc_end16:
	.size	_ZL20rocblas_tbmvx_kernelILi64ELi16EPKPKfPKPfEv18rocblas_operation_bbiiT1_lllS8_T2_llli, .Lfunc_end16-_ZL20rocblas_tbmvx_kernelILi64ELi16EPKPKfPKPfEv18rocblas_operation_bbiiT1_lllS8_T2_llli
                                        ; -- End function
	.section	.AMDGPU.csdata,"",@progbits
; Kernel info:
; codeLenInByte = 1952
; NumSgprs: 30
; NumVgprs: 17
; ScratchSize: 0
; MemoryBound: 0
; FloatMode: 240
; IeeeMode: 1
; LDSByteSize: 4096 bytes/workgroup (compile time only)
; SGPRBlocks: 3
; VGPRBlocks: 2
; NumSGPRsForWavesPerEU: 30
; NumVGPRsForWavesPerEU: 17
; Occupancy: 16
; WaveLimiterHint : 1
; COMPUTE_PGM_RSRC2:SCRATCH_EN: 0
; COMPUTE_PGM_RSRC2:USER_SGPR: 14
; COMPUTE_PGM_RSRC2:TRAP_HANDLER: 0
; COMPUTE_PGM_RSRC2:TGID_X_EN: 1
; COMPUTE_PGM_RSRC2:TGID_Y_EN: 0
; COMPUTE_PGM_RSRC2:TGID_Z_EN: 1
; COMPUTE_PGM_RSRC2:TIDIG_COMP_CNT: 1
	.section	.text._ZL19rocblas_copy_kernelIlLi256EPKPdS2_EviT1_lT_lT2_lS4_li,"axG",@progbits,_ZL19rocblas_copy_kernelIlLi256EPKPdS2_EviT1_lT_lT2_lS4_li,comdat
	.globl	_ZL19rocblas_copy_kernelIlLi256EPKPdS2_EviT1_lT_lT2_lS4_li ; -- Begin function _ZL19rocblas_copy_kernelIlLi256EPKPdS2_EviT1_lT_lT2_lS4_li
	.p2align	8
	.type	_ZL19rocblas_copy_kernelIlLi256EPKPdS2_EviT1_lT_lT2_lS4_li,@function
_ZL19rocblas_copy_kernelIlLi256EPKPdS2_EviT1_lT_lT2_lS4_li: ; @_ZL19rocblas_copy_kernelIlLi256EPKPdS2_EviT1_lT_lT2_lS4_li
; %bb.0:
	s_load_b32 s4, s[0:1], 0x0
	v_lshl_or_b32 v0, s14, 8, v0
	v_mov_b32_e32 v1, 0
	s_mov_b32 s3, exec_lo
	s_waitcnt lgkmcnt(0)
	s_ashr_i32 s5, s4, 31
	s_delay_alu instid0(VALU_DEP_1) | instid1(SALU_CYCLE_1)
	v_cmpx_gt_i64_e64 s[4:5], v[0:1]
	s_cbranch_execz .LBB17_2
; %bb.1:
	s_clause 0x1
	s_load_b128 s[4:7], s[0:1], 0x28
	s_load_b64 s[8:9], s[0:1], 0x18
	s_mov_b32 s2, s15
	s_mov_b32 s3, 0
	s_load_b64 s[12:13], s[0:1], 0x38
	s_lshl_b64 s[10:11], s[2:3], 3
	s_waitcnt lgkmcnt(0)
	s_add_u32 s2, s4, s10
	s_addc_u32 s3, s5, s11
	s_lshl_b64 s[6:7], s[6:7], 3
	s_load_b64 s[4:5], s[2:3], 0x0
	s_load_b128 s[0:3], s[0:1], 0x8
	v_mad_u64_u32 v[1:2], null, v0, s8, 0
	s_delay_alu instid0(VALU_DEP_1) | instskip(NEXT) | instid1(VALU_DEP_1)
	v_mad_u64_u32 v[3:4], null, v0, s9, v[2:3]
	v_mov_b32_e32 v2, v3
	v_mad_u64_u32 v[3:4], null, v0, s12, 0
	s_waitcnt lgkmcnt(0)
	s_add_u32 s4, s4, s6
	s_addc_u32 s5, s5, s7
	s_add_u32 s0, s0, s10
	s_addc_u32 s1, s1, s11
	v_lshlrev_b64 v[1:2], 3, v[1:2]
	s_load_b64 s[0:1], s[0:1], 0x0
	s_lshl_b64 s[2:3], s[2:3], 3
	v_mad_u64_u32 v[5:6], null, v0, s13, v[4:5]
	s_delay_alu instid0(VALU_DEP_1) | instskip(NEXT) | instid1(VALU_DEP_1)
	v_mov_b32_e32 v4, v5
	v_lshlrev_b64 v[3:4], 3, v[3:4]
	s_waitcnt lgkmcnt(0)
	s_add_u32 s0, s0, s2
	s_addc_u32 s1, s1, s3
	v_add_co_u32 v1, vcc_lo, s0, v1
	v_add_co_ci_u32_e32 v2, vcc_lo, s1, v2, vcc_lo
	v_add_co_u32 v3, vcc_lo, s4, v3
	v_add_co_ci_u32_e32 v4, vcc_lo, s5, v4, vcc_lo
	global_load_b64 v[1:2], v[1:2], off
	s_waitcnt vmcnt(0)
	global_store_b64 v[3:4], v[1:2], off
.LBB17_2:
	s_nop 0
	s_sendmsg sendmsg(MSG_DEALLOC_VGPRS)
	s_endpgm
	.section	.rodata,"a",@progbits
	.p2align	6, 0x0
	.amdhsa_kernel _ZL19rocblas_copy_kernelIlLi256EPKPdS2_EviT1_lT_lT2_lS4_li
		.amdhsa_group_segment_fixed_size 0
		.amdhsa_private_segment_fixed_size 0
		.amdhsa_kernarg_size 76
		.amdhsa_user_sgpr_count 14
		.amdhsa_user_sgpr_dispatch_ptr 0
		.amdhsa_user_sgpr_queue_ptr 0
		.amdhsa_user_sgpr_kernarg_segment_ptr 1
		.amdhsa_user_sgpr_dispatch_id 0
		.amdhsa_user_sgpr_private_segment_size 0
		.amdhsa_wavefront_size32 1
		.amdhsa_uses_dynamic_stack 0
		.amdhsa_enable_private_segment 0
		.amdhsa_system_sgpr_workgroup_id_x 1
		.amdhsa_system_sgpr_workgroup_id_y 0
		.amdhsa_system_sgpr_workgroup_id_z 1
		.amdhsa_system_sgpr_workgroup_info 0
		.amdhsa_system_vgpr_workitem_id 0
		.amdhsa_next_free_vgpr 7
		.amdhsa_next_free_sgpr 16
		.amdhsa_reserve_vcc 1
		.amdhsa_float_round_mode_32 0
		.amdhsa_float_round_mode_16_64 0
		.amdhsa_float_denorm_mode_32 3
		.amdhsa_float_denorm_mode_16_64 3
		.amdhsa_dx10_clamp 1
		.amdhsa_ieee_mode 1
		.amdhsa_fp16_overflow 0
		.amdhsa_workgroup_processor_mode 1
		.amdhsa_memory_ordered 1
		.amdhsa_forward_progress 0
		.amdhsa_shared_vgpr_count 0
		.amdhsa_exception_fp_ieee_invalid_op 0
		.amdhsa_exception_fp_denorm_src 0
		.amdhsa_exception_fp_ieee_div_zero 0
		.amdhsa_exception_fp_ieee_overflow 0
		.amdhsa_exception_fp_ieee_underflow 0
		.amdhsa_exception_fp_ieee_inexact 0
		.amdhsa_exception_int_div_zero 0
	.end_amdhsa_kernel
	.section	.text._ZL19rocblas_copy_kernelIlLi256EPKPdS2_EviT1_lT_lT2_lS4_li,"axG",@progbits,_ZL19rocblas_copy_kernelIlLi256EPKPdS2_EviT1_lT_lT2_lS4_li,comdat
.Lfunc_end17:
	.size	_ZL19rocblas_copy_kernelIlLi256EPKPdS2_EviT1_lT_lT2_lS4_li, .Lfunc_end17-_ZL19rocblas_copy_kernelIlLi256EPKPdS2_EviT1_lT_lT2_lS4_li
                                        ; -- End function
	.section	.AMDGPU.csdata,"",@progbits
; Kernel info:
; codeLenInByte = 284
; NumSgprs: 18
; NumVgprs: 7
; ScratchSize: 0
; MemoryBound: 0
; FloatMode: 240
; IeeeMode: 1
; LDSByteSize: 0 bytes/workgroup (compile time only)
; SGPRBlocks: 2
; VGPRBlocks: 0
; NumSGPRsForWavesPerEU: 18
; NumVGPRsForWavesPerEU: 7
; Occupancy: 16
; WaveLimiterHint : 1
; COMPUTE_PGM_RSRC2:SCRATCH_EN: 0
; COMPUTE_PGM_RSRC2:USER_SGPR: 14
; COMPUTE_PGM_RSRC2:TRAP_HANDLER: 0
; COMPUTE_PGM_RSRC2:TGID_X_EN: 1
; COMPUTE_PGM_RSRC2:TGID_Y_EN: 0
; COMPUTE_PGM_RSRC2:TGID_Z_EN: 1
; COMPUTE_PGM_RSRC2:TIDIG_COMP_CNT: 0
	.section	.text._ZL19rocblas_copy_kernelIiLi256EPKPdS2_EviT1_lT_lT2_lS4_li,"axG",@progbits,_ZL19rocblas_copy_kernelIiLi256EPKPdS2_EviT1_lT_lT2_lS4_li,comdat
	.globl	_ZL19rocblas_copy_kernelIiLi256EPKPdS2_EviT1_lT_lT2_lS4_li ; -- Begin function _ZL19rocblas_copy_kernelIiLi256EPKPdS2_EviT1_lT_lT2_lS4_li
	.p2align	8
	.type	_ZL19rocblas_copy_kernelIiLi256EPKPdS2_EviT1_lT_lT2_lS4_li,@function
_ZL19rocblas_copy_kernelIiLi256EPKPdS2_EviT1_lT_lT2_lS4_li: ; @_ZL19rocblas_copy_kernelIiLi256EPKPdS2_EviT1_lT_lT2_lS4_li
; %bb.0:
	s_load_b32 s4, s[0:1], 0x0
	v_lshl_or_b32 v0, s14, 8, v0
	v_mov_b32_e32 v1, 0
	s_mov_b32 s3, exec_lo
	s_waitcnt lgkmcnt(0)
	s_ashr_i32 s5, s4, 31
	s_delay_alu instid0(VALU_DEP_1) | instid1(SALU_CYCLE_1)
	v_cmpx_gt_i64_e64 s[4:5], v[0:1]
	s_cbranch_execz .LBB18_2
; %bb.1:
	s_clause 0x2
	s_load_b32 s10, s[0:1], 0x18
	s_load_b32 s11, s[0:1], 0x38
	s_load_b128 s[4:7], s[0:1], 0x28
	s_mov_b32 s2, s15
	s_mov_b32 s3, 0
	s_delay_alu instid0(SALU_CYCLE_1)
	s_lshl_b64 s[8:9], s[2:3], 3
	s_waitcnt lgkmcnt(0)
	s_ashr_i32 s12, s10, 31
	s_ashr_i32 s13, s11, 31
	s_add_u32 s2, s4, s8
	s_addc_u32 s3, s5, s9
	s_lshl_b64 s[6:7], s[6:7], 3
	s_load_b64 s[4:5], s[2:3], 0x0
	s_load_b128 s[0:3], s[0:1], 0x8
	v_mad_u64_u32 v[1:2], null, s10, v0, 0
	s_delay_alu instid0(VALU_DEP_1) | instskip(NEXT) | instid1(VALU_DEP_1)
	v_mad_u64_u32 v[3:4], null, s12, v0, v[2:3]
	v_mov_b32_e32 v2, v3
	v_mad_u64_u32 v[3:4], null, s11, v0, 0
	s_waitcnt lgkmcnt(0)
	s_add_u32 s4, s4, s6
	s_addc_u32 s5, s5, s7
	s_add_u32 s0, s0, s8
	s_addc_u32 s1, s1, s9
	v_lshlrev_b64 v[1:2], 3, v[1:2]
	s_load_b64 s[0:1], s[0:1], 0x0
	s_lshl_b64 s[2:3], s[2:3], 3
	v_mad_u64_u32 v[5:6], null, s13, v0, v[4:5]
	s_delay_alu instid0(VALU_DEP_1) | instskip(NEXT) | instid1(VALU_DEP_1)
	v_mov_b32_e32 v4, v5
	v_lshlrev_b64 v[3:4], 3, v[3:4]
	s_waitcnt lgkmcnt(0)
	s_add_u32 s0, s0, s2
	s_addc_u32 s1, s1, s3
	v_add_co_u32 v1, vcc_lo, s0, v1
	v_add_co_ci_u32_e32 v2, vcc_lo, s1, v2, vcc_lo
	v_add_co_u32 v3, vcc_lo, s4, v3
	v_add_co_ci_u32_e32 v4, vcc_lo, s5, v4, vcc_lo
	global_load_b64 v[1:2], v[1:2], off
	s_waitcnt vmcnt(0)
	global_store_b64 v[3:4], v[1:2], off
.LBB18_2:
	s_nop 0
	s_sendmsg sendmsg(MSG_DEALLOC_VGPRS)
	s_endpgm
	.section	.rodata,"a",@progbits
	.p2align	6, 0x0
	.amdhsa_kernel _ZL19rocblas_copy_kernelIiLi256EPKPdS2_EviT1_lT_lT2_lS4_li
		.amdhsa_group_segment_fixed_size 0
		.amdhsa_private_segment_fixed_size 0
		.amdhsa_kernarg_size 76
		.amdhsa_user_sgpr_count 14
		.amdhsa_user_sgpr_dispatch_ptr 0
		.amdhsa_user_sgpr_queue_ptr 0
		.amdhsa_user_sgpr_kernarg_segment_ptr 1
		.amdhsa_user_sgpr_dispatch_id 0
		.amdhsa_user_sgpr_private_segment_size 0
		.amdhsa_wavefront_size32 1
		.amdhsa_uses_dynamic_stack 0
		.amdhsa_enable_private_segment 0
		.amdhsa_system_sgpr_workgroup_id_x 1
		.amdhsa_system_sgpr_workgroup_id_y 0
		.amdhsa_system_sgpr_workgroup_id_z 1
		.amdhsa_system_sgpr_workgroup_info 0
		.amdhsa_system_vgpr_workitem_id 0
		.amdhsa_next_free_vgpr 7
		.amdhsa_next_free_sgpr 16
		.amdhsa_reserve_vcc 1
		.amdhsa_float_round_mode_32 0
		.amdhsa_float_round_mode_16_64 0
		.amdhsa_float_denorm_mode_32 3
		.amdhsa_float_denorm_mode_16_64 3
		.amdhsa_dx10_clamp 1
		.amdhsa_ieee_mode 1
		.amdhsa_fp16_overflow 0
		.amdhsa_workgroup_processor_mode 1
		.amdhsa_memory_ordered 1
		.amdhsa_forward_progress 0
		.amdhsa_shared_vgpr_count 0
		.amdhsa_exception_fp_ieee_invalid_op 0
		.amdhsa_exception_fp_denorm_src 0
		.amdhsa_exception_fp_ieee_div_zero 0
		.amdhsa_exception_fp_ieee_overflow 0
		.amdhsa_exception_fp_ieee_underflow 0
		.amdhsa_exception_fp_ieee_inexact 0
		.amdhsa_exception_int_div_zero 0
	.end_amdhsa_kernel
	.section	.text._ZL19rocblas_copy_kernelIiLi256EPKPdS2_EviT1_lT_lT2_lS4_li,"axG",@progbits,_ZL19rocblas_copy_kernelIiLi256EPKPdS2_EviT1_lT_lT2_lS4_li,comdat
.Lfunc_end18:
	.size	_ZL19rocblas_copy_kernelIiLi256EPKPdS2_EviT1_lT_lT2_lS4_li, .Lfunc_end18-_ZL19rocblas_copy_kernelIiLi256EPKPdS2_EviT1_lT_lT2_lS4_li
                                        ; -- End function
	.section	.AMDGPU.csdata,"",@progbits
; Kernel info:
; codeLenInByte = 296
; NumSgprs: 18
; NumVgprs: 7
; ScratchSize: 0
; MemoryBound: 0
; FloatMode: 240
; IeeeMode: 1
; LDSByteSize: 0 bytes/workgroup (compile time only)
; SGPRBlocks: 2
; VGPRBlocks: 0
; NumSGPRsForWavesPerEU: 18
; NumVGPRsForWavesPerEU: 7
; Occupancy: 16
; WaveLimiterHint : 1
; COMPUTE_PGM_RSRC2:SCRATCH_EN: 0
; COMPUTE_PGM_RSRC2:USER_SGPR: 14
; COMPUTE_PGM_RSRC2:TRAP_HANDLER: 0
; COMPUTE_PGM_RSRC2:TGID_X_EN: 1
; COMPUTE_PGM_RSRC2:TGID_Y_EN: 0
; COMPUTE_PGM_RSRC2:TGID_Z_EN: 1
; COMPUTE_PGM_RSRC2:TIDIG_COMP_CNT: 0
	.section	.text._ZL20rocblas_tbmvx_kernelILi64ELi16EPKPKdPKPdEv18rocblas_operation_bbiiT1_lllS8_T2_llli,"axG",@progbits,_ZL20rocblas_tbmvx_kernelILi64ELi16EPKPKdPKPdEv18rocblas_operation_bbiiT1_lllS8_T2_llli,comdat
	.globl	_ZL20rocblas_tbmvx_kernelILi64ELi16EPKPKdPKPdEv18rocblas_operation_bbiiT1_lllS8_T2_llli ; -- Begin function _ZL20rocblas_tbmvx_kernelILi64ELi16EPKPKdPKPdEv18rocblas_operation_bbiiT1_lllS8_T2_llli
	.p2align	8
	.type	_ZL20rocblas_tbmvx_kernelILi64ELi16EPKPKdPKPdEv18rocblas_operation_bbiiT1_lllS8_T2_llli,@function
_ZL20rocblas_tbmvx_kernelILi64ELi16EPKPKdPKPdEv18rocblas_operation_bbiiT1_lllS8_T2_llli: ; @_ZL20rocblas_tbmvx_kernelILi64ELi16EPKPKdPKPdEv18rocblas_operation_bbiiT1_lllS8_T2_llli
; %bb.0:
	s_load_b64 s[4:5], s[0:1], 0x6c
	s_waitcnt lgkmcnt(0)
	s_lshr_b32 s3, s4, 16
	s_and_b32 s24, s4, 0xffff
	s_and_b32 s4, s5, 0xffff
	s_mul_i32 s3, s3, s24
	s_delay_alu instid0(SALU_CYCLE_1) | instskip(NEXT) | instid1(SALU_CYCLE_1)
	s_mul_i32 s3, s3, s4
	s_cmpk_lg_i32 s3, 0x400
	s_cbranch_scc1 .LBB19_60
; %bb.1:
	s_clause 0x3
	s_load_b64 s[26:27], s[0:1], 0x0
	s_load_b128 s[16:19], s[0:1], 0x4
	s_load_b128 s[20:23], s[0:1], 0x10
	s_load_b256 s[4:11], s[0:1], 0x30
	s_mov_b32 s2, s15
	s_mov_b32 s3, 0
	s_load_b64 s[12:13], s[0:1], 0x20
	v_and_b32_e32 v1, 0x3ff, v0
	v_bfe_u32 v0, v0, 10, 10
	s_delay_alu instid0(VALU_DEP_1) | instskip(NEXT) | instid1(VALU_DEP_1)
	v_mad_u32_u24 v13, v0, s24, v1
	v_and_b32_e32 v14, 63, v13
	v_lshrrev_b32_e32 v0, 6, v13
	s_waitcnt lgkmcnt(0)
	s_bitcmp1_b32 s27, 0
	s_cselect_b32 s15, -1, 0
	s_bitcmp1_b32 s16, 8
	s_cselect_b32 s16, -1, 0
	s_lshl_b64 s[0:1], s[2:3], 3
	s_delay_alu instid0(SALU_CYCLE_1)
	s_add_u32 s2, s20, s0
	s_addc_u32 s3, s21, s1
	s_add_u32 s4, s4, s0
	s_addc_u32 s5, s5, s1
	;; [unrolled: 2-line block ×3, first 2 shown]
	s_load_b64 s[20:21], s[2:3], 0x0
	s_load_b64 s[4:5], s[4:5], 0x0
	;; [unrolled: 1-line block ×3, first 2 shown]
	s_lshl_b32 s14, s14, 6
	s_cmpk_lg_i32 s26, 0x6f
	v_or_b32_e32 v4, s14, v14
	s_mov_b32 s0, -1
	s_cbranch_scc0 .LBB19_4
; %bb.2:
	v_dual_mov_b32 v1, 0 :: v_dual_mov_b32 v2, 0
	v_cmp_ge_i32_e64 s0, s18, v0
	v_mov_b32_e32 v3, 0
	s_delay_alu instid0(VALU_DEP_3) | instskip(NEXT) | instid1(VALU_DEP_3)
	v_cmp_gt_i64_e32 vcc_lo, s[12:13], v[0:1]
	s_and_b32 s0, s0, vcc_lo
	s_delay_alu instid0(SALU_CYCLE_1)
	s_and_saveexec_b32 s6, s0
	s_cbranch_execz .LBB19_32
; %bb.3:
	v_ashrrev_i32_e32 v5, 31, v4
	v_mul_lo_u32 v2, v4, s13
	v_mad_u64_u32 v[6:7], null, v4, s12, 0
	s_lshl_b64 s[24:25], s[22:23], 3
	s_delay_alu instid0(VALU_DEP_3)
	v_mul_lo_u32 v3, v5, s12
	v_lshlrev_b64 v[8:9], 3, v[4:5]
	s_xor_b32 s7, s15, -1
	s_xor_b32 s19, s16, -1
	s_waitcnt lgkmcnt(0)
	s_add_u32 s1, s20, s24
	s_addc_u32 s24, s21, s25
	v_cmp_gt_i32_e64 s0, s17, v4
	v_add_co_u32 v5, vcc_lo, s4, v8
	v_add3_u32 v7, v7, v2, v3
	v_mov_b32_e32 v2, 0
	v_mov_b32_e32 v3, 0
	v_xad_u32 v15, v4, -1, s17
	v_sub_nc_u32_e32 v16, s18, v4
	v_lshlrev_b64 v[10:11], 3, v[6:7]
	v_add_co_ci_u32_e32 v6, vcc_lo, s5, v9, vcc_lo
	s_delay_alu instid0(VALU_DEP_2) | instskip(SKIP_1) | instid1(VALU_DEP_4)
	v_add_co_u32 v7, vcc_lo, s1, v10
	v_mov_b32_e32 v10, v1
	v_add_co_ci_u32_e32 v8, vcc_lo, s24, v11, vcc_lo
	v_mov_b32_e32 v9, v0
	s_mov_b32 s24, 0
	s_branch .LBB19_10
.LBB19_4:
                                        ; implicit-def: $vgpr2_vgpr3
	s_and_not1_b32 vcc_lo, exec_lo, s0
	s_cbranch_vccz .LBB19_33
	s_branch .LBB19_58
.LBB19_5:                               ;   in Loop: Header=BB19_10 Depth=1
	s_delay_alu instid0(VALU_DEP_1)
	v_dual_mov_b32 v2, v10 :: v_dual_mov_b32 v3, v11
.LBB19_6:                               ;   in Loop: Header=BB19_10 Depth=1
	s_or_b32 exec_lo, exec_lo, s26
.LBB19_7:                               ;   in Loop: Header=BB19_10 Depth=1
	s_delay_alu instid0(SALU_CYCLE_1) | instskip(NEXT) | instid1(VALU_DEP_1)
	s_or_b32 exec_lo, exec_lo, s1
	v_dual_mov_b32 v12, v3 :: v_dual_mov_b32 v11, v2
.LBB19_8:                               ;   in Loop: Header=BB19_10 Depth=1
	s_delay_alu instid0(VALU_DEP_1)
	v_dual_mov_b32 v2, v11 :: v_dual_mov_b32 v3, v12
.LBB19_9:                               ;   in Loop: Header=BB19_10 Depth=1
	s_or_b32 exec_lo, exec_lo, s25
	v_add_nc_u32_e32 v9, 16, v9
	s_delay_alu instid0(VALU_DEP_1) | instskip(SKIP_1) | instid1(VALU_DEP_2)
	v_ashrrev_i32_e32 v10, 31, v9
	v_cmp_lt_i32_e64 s1, s18, v9
	v_cmp_le_i64_e32 vcc_lo, s[12:13], v[9:10]
	s_delay_alu instid0(VALU_DEP_2) | instskip(NEXT) | instid1(SALU_CYCLE_1)
	s_or_b32 s1, s1, vcc_lo
	s_and_b32 s1, exec_lo, s1
	s_delay_alu instid0(SALU_CYCLE_1) | instskip(NEXT) | instid1(SALU_CYCLE_1)
	s_or_b32 s24, s1, s24
	s_and_not1_b32 exec_lo, exec_lo, s24
	s_cbranch_execz .LBB19_31
.LBB19_10:                              ; =>This Inner Loop Header: Depth=1
	s_and_saveexec_b32 s25, s0
	s_cbranch_execz .LBB19_9
; %bb.11:                               ;   in Loop: Header=BB19_10 Depth=1
	s_and_b32 vcc_lo, exec_lo, s7
	s_cbranch_vccz .LBB19_16
; %bb.12:                               ;   in Loop: Header=BB19_10 Depth=1
	v_cmp_gt_i64_e32 vcc_lo, 1, v[9:10]
	v_cmp_lt_i32_e64 s1, v15, v9
                                        ; implicit-def: $vgpr11_vgpr12
	s_delay_alu instid0(VALU_DEP_1) | instskip(NEXT) | instid1(SALU_CYCLE_1)
	s_or_b32 s1, vcc_lo, s1
	s_and_saveexec_b32 s26, s1
	s_delay_alu instid0(SALU_CYCLE_1)
	s_xor_b32 s1, exec_lo, s26
	s_cbranch_execz .LBB19_20
; %bb.13:                               ;   in Loop: Header=BB19_10 Depth=1
	v_dual_mov_b32 v12, v3 :: v_dual_mov_b32 v11, v2
	s_mov_b32 s26, exec_lo
	v_cmpx_eq_u64_e32 0, v[9:10]
	s_cbranch_execz .LBB19_19
; %bb.14:                               ;   in Loop: Header=BB19_10 Depth=1
	s_and_b32 vcc_lo, exec_lo, s19
	s_cbranch_vccz .LBB19_17
; %bb.15:                               ;   in Loop: Header=BB19_10 Depth=1
	global_load_b64 v[11:12], v[7:8], off
	global_load_b64 v[17:18], v[5:6], off
	s_waitcnt vmcnt(0)
	v_fma_f64 v[11:12], v[11:12], v[17:18], v[2:3]
	s_cbranch_execz .LBB19_18
	s_branch .LBB19_19
.LBB19_16:                              ;   in Loop: Header=BB19_10 Depth=1
                                        ; implicit-def: $vgpr11_vgpr12
	s_branch .LBB19_23
.LBB19_17:                              ;   in Loop: Header=BB19_10 Depth=1
                                        ; implicit-def: $vgpr11_vgpr12
.LBB19_18:                              ;   in Loop: Header=BB19_10 Depth=1
	global_load_b64 v[11:12], v[5:6], off
	s_waitcnt vmcnt(0)
	v_add_f64 v[11:12], v[2:3], v[11:12]
.LBB19_19:                              ;   in Loop: Header=BB19_10 Depth=1
	s_or_b32 exec_lo, exec_lo, s26
.LBB19_20:                              ;   in Loop: Header=BB19_10 Depth=1
	s_and_not1_saveexec_b32 s1, s1
	s_cbranch_execz .LBB19_22
; %bb.21:                               ;   in Loop: Header=BB19_10 Depth=1
	v_add_nc_u32_e32 v11, v4, v9
	v_lshlrev_b64 v[17:18], 3, v[9:10]
	s_delay_alu instid0(VALU_DEP_2) | instskip(NEXT) | instid1(VALU_DEP_2)
	v_ashrrev_i32_e32 v12, 31, v11
	v_add_co_u32 v17, vcc_lo, v7, v17
	s_delay_alu instid0(VALU_DEP_3) | instskip(NEXT) | instid1(VALU_DEP_3)
	v_add_co_ci_u32_e32 v18, vcc_lo, v8, v18, vcc_lo
	v_lshlrev_b64 v[11:12], 3, v[11:12]
	s_delay_alu instid0(VALU_DEP_1) | instskip(NEXT) | instid1(VALU_DEP_2)
	v_add_co_u32 v11, vcc_lo, s4, v11
	v_add_co_ci_u32_e32 v12, vcc_lo, s5, v12, vcc_lo
	global_load_b64 v[17:18], v[17:18], off
	global_load_b64 v[11:12], v[11:12], off
	s_waitcnt vmcnt(0)
	v_fma_f64 v[11:12], v[17:18], v[11:12], v[2:3]
.LBB19_22:                              ;   in Loop: Header=BB19_10 Depth=1
	s_or_b32 exec_lo, exec_lo, s1
	s_cbranch_execnz .LBB19_8
.LBB19_23:                              ;   in Loop: Header=BB19_10 Depth=1
	v_cmp_gt_i32_e32 vcc_lo, s18, v9
	v_cmp_ge_i32_e64 s1, v9, v16
	s_delay_alu instid0(VALU_DEP_1) | instskip(NEXT) | instid1(SALU_CYCLE_1)
	s_and_b32 s1, vcc_lo, s1
	s_and_saveexec_b32 s26, s1
	s_delay_alu instid0(SALU_CYCLE_1)
	s_xor_b32 s1, exec_lo, s26
	s_cbranch_execz .LBB19_25
; %bb.24:                               ;   in Loop: Header=BB19_10 Depth=1
	v_sub_nc_u32_e32 v11, v9, v16
	v_lshlrev_b64 v[17:18], 3, v[9:10]
	s_delay_alu instid0(VALU_DEP_2) | instskip(NEXT) | instid1(VALU_DEP_2)
	v_ashrrev_i32_e32 v12, 31, v11
	v_add_co_u32 v17, vcc_lo, v7, v17
	s_delay_alu instid0(VALU_DEP_3) | instskip(NEXT) | instid1(VALU_DEP_3)
	v_add_co_ci_u32_e32 v18, vcc_lo, v8, v18, vcc_lo
	v_lshlrev_b64 v[11:12], 3, v[11:12]
	s_delay_alu instid0(VALU_DEP_1) | instskip(NEXT) | instid1(VALU_DEP_2)
	v_add_co_u32 v11, vcc_lo, s4, v11
	v_add_co_ci_u32_e32 v12, vcc_lo, s5, v12, vcc_lo
	global_load_b64 v[17:18], v[17:18], off
	global_load_b64 v[11:12], v[11:12], off
	s_waitcnt vmcnt(0)
	v_fma_f64 v[2:3], v[17:18], v[11:12], v[2:3]
.LBB19_25:                              ;   in Loop: Header=BB19_10 Depth=1
	s_and_not1_saveexec_b32 s1, s1
	s_cbranch_execz .LBB19_7
; %bb.26:                               ;   in Loop: Header=BB19_10 Depth=1
	s_mov_b32 s26, exec_lo
	v_cmpx_eq_u32_e64 s18, v9
	s_cbranch_execz .LBB19_6
; %bb.27:                               ;   in Loop: Header=BB19_10 Depth=1
	s_and_b32 vcc_lo, exec_lo, s19
	s_cbranch_vccz .LBB19_29
; %bb.28:                               ;   in Loop: Header=BB19_10 Depth=1
	v_lshlrev_b64 v[10:11], 3, v[9:10]
	s_delay_alu instid0(VALU_DEP_1) | instskip(NEXT) | instid1(VALU_DEP_2)
	v_add_co_u32 v10, vcc_lo, v7, v10
	v_add_co_ci_u32_e32 v11, vcc_lo, v8, v11, vcc_lo
	global_load_b64 v[10:11], v[10:11], off
	global_load_b64 v[17:18], v[5:6], off
	s_waitcnt vmcnt(0)
	v_fma_f64 v[10:11], v[10:11], v[17:18], v[2:3]
	s_cbranch_execnz .LBB19_5
	s_branch .LBB19_30
.LBB19_29:                              ;   in Loop: Header=BB19_10 Depth=1
                                        ; implicit-def: $vgpr10_vgpr11
.LBB19_30:                              ;   in Loop: Header=BB19_10 Depth=1
	global_load_b64 v[10:11], v[5:6], off
	s_waitcnt vmcnt(0)
	v_add_f64 v[10:11], v[2:3], v[10:11]
	s_branch .LBB19_5
.LBB19_31:
	s_or_b32 exec_lo, exec_lo, s24
.LBB19_32:
	s_delay_alu instid0(SALU_CYCLE_1)
	s_or_b32 exec_lo, exec_lo, s6
	s_cbranch_execnz .LBB19_58
.LBB19_33:
	v_mov_b32_e32 v2, 0
	v_mov_b32_e32 v3, 0
	s_mov_b32 s24, exec_lo
	v_cmpx_gt_i32_e64 s17, v0
	s_cbranch_execz .LBB19_57
; %bb.34:
	v_mad_u64_u32 v[1:2], null, s12, v0, 0
	s_and_b32 s0, s15, exec_lo
	v_cmp_gt_i32_e64 s0, s17, v4
	s_cselect_b32 s1, s18, 0
	s_and_b32 s6, s15, s16
	s_xor_b32 s7, s16, -1
	s_xor_b32 s16, s6, -1
	s_delay_alu instid0(VALU_DEP_2)
	v_mad_u64_u32 v[3:4], null, s13, v0, v[2:3]
	v_dual_mov_b32 v5, 0 :: v_dual_lshlrev_b32 v6, 3, v0
	s_cmp_lg_u32 s18, 0
	v_add3_u32 v4, s1, s14, v14
	s_cselect_b32 s1, -1, 0
	s_waitcnt lgkmcnt(0)
	v_add_co_u32 v6, s4, s4, v6
	s_delay_alu instid0(VALU_DEP_4) | instskip(SKIP_3) | instid1(VALU_DEP_2)
	v_mov_b32_e32 v2, v3
	s_and_b32 s1, s1, s15
	v_add_co_ci_u32_e64 v7, null, s5, 0, s4
	s_or_b32 s1, s1, s7
	v_lshlrev_b64 v[1:2], 3, v[1:2]
	s_lshl_b64 s[4:5], s[22:23], 3
	s_ashr_i32 s19, s18, 31
	s_xor_b32 s15, s1, -1
	s_add_u32 s1, s20, s4
	s_addc_u32 s4, s21, s5
	v_add_co_u32 v8, vcc_lo, s1, v1
	v_add_co_ci_u32_e32 v9, vcc_lo, s4, v2, vcc_lo
	v_mov_b32_e32 v2, 0
	v_sub_nc_u32_e32 v4, v4, v0
	v_mov_b32_e32 v3, 0
	s_mov_b32 s20, 0
	s_lshl_b64 s[4:5], s[12:13], 7
	s_lshl_b64 s[6:7], s[18:19], 3
	s_branch .LBB19_37
.LBB19_35:                              ;   in Loop: Header=BB19_37 Depth=1
	s_or_b32 exec_lo, exec_lo, s1
.LBB19_36:                              ;   in Loop: Header=BB19_37 Depth=1
	s_delay_alu instid0(SALU_CYCLE_1) | instskip(SKIP_3) | instid1(VALU_DEP_3)
	s_or_b32 exec_lo, exec_lo, s12
	v_add_nc_u32_e32 v0, 16, v0
	v_add_co_u32 v6, vcc_lo, 0x80, v6
	v_add_co_ci_u32_e32 v7, vcc_lo, 0, v7, vcc_lo
	v_cmp_le_i32_e32 vcc_lo, s17, v0
	v_add_co_u32 v8, s1, v8, s4
	s_delay_alu instid0(VALU_DEP_1) | instskip(SKIP_2) | instid1(SALU_CYCLE_1)
	v_add_co_ci_u32_e64 v9, s1, s5, v9, s1
	v_add_nc_u32_e32 v4, -16, v4
	s_or_b32 s20, vcc_lo, s20
	s_and_not1_b32 exec_lo, exec_lo, s20
	s_cbranch_execz .LBB19_56
.LBB19_37:                              ; =>This Inner Loop Header: Depth=1
	s_and_saveexec_b32 s12, s0
	s_cbranch_execz .LBB19_36
; %bb.38:                               ;   in Loop: Header=BB19_37 Depth=1
	v_cmp_le_i32_e32 vcc_lo, s18, v4
	v_cmp_gt_i32_e64 s1, 1, v4
	s_delay_alu instid0(VALU_DEP_1) | instskip(NEXT) | instid1(SALU_CYCLE_1)
	s_or_b32 s1, vcc_lo, s1
	s_and_saveexec_b32 s13, s1
	s_delay_alu instid0(SALU_CYCLE_1)
	s_xor_b32 s1, exec_lo, s13
	s_cbranch_execz .LBB19_52
; %bb.39:                               ;   in Loop: Header=BB19_37 Depth=1
	s_mov_b32 s13, exec_lo
	v_cmpx_ne_u32_e32 0, v4
	s_xor_b32 s13, exec_lo, s13
	s_cbranch_execz .LBB19_46
; %bb.40:                               ;   in Loop: Header=BB19_37 Depth=1
	s_mov_b32 s19, exec_lo
	v_cmpx_eq_u32_e64 s18, v4
	s_cbranch_execz .LBB19_45
; %bb.41:                               ;   in Loop: Header=BB19_37 Depth=1
	s_and_b32 vcc_lo, exec_lo, s16
	s_cbranch_vccz .LBB19_55
; %bb.42:                               ;   in Loop: Header=BB19_37 Depth=1
	v_add_co_u32 v10, vcc_lo, v8, s6
	v_add_co_ci_u32_e32 v11, vcc_lo, s7, v9, vcc_lo
	global_load_b64 v[10:11], v[10:11], off
	global_load_b64 v[14:15], v[6:7], off
	s_waitcnt vmcnt(0)
	v_fma_f64 v[10:11], v[10:11], v[14:15], v[2:3]
	s_cbranch_execnz .LBB19_44
.LBB19_43:                              ;   in Loop: Header=BB19_37 Depth=1
	global_load_b64 v[10:11], v[6:7], off
	s_waitcnt vmcnt(0)
	v_add_f64 v[10:11], v[2:3], v[10:11]
.LBB19_44:                              ;   in Loop: Header=BB19_37 Depth=1
	s_delay_alu instid0(VALU_DEP_1)
	v_dual_mov_b32 v2, v10 :: v_dual_mov_b32 v3, v11
.LBB19_45:                              ;   in Loop: Header=BB19_37 Depth=1
	s_or_b32 exec_lo, exec_lo, s19
.LBB19_46:                              ;   in Loop: Header=BB19_37 Depth=1
	s_and_not1_saveexec_b32 s13, s13
	s_cbranch_execz .LBB19_51
; %bb.47:                               ;   in Loop: Header=BB19_37 Depth=1
	s_and_not1_b32 vcc_lo, exec_lo, s15
	s_cbranch_vccnz .LBB19_54
; %bb.48:                               ;   in Loop: Header=BB19_37 Depth=1
	global_load_b64 v[10:11], v[6:7], off
	s_waitcnt vmcnt(0)
	v_add_f64 v[10:11], v[2:3], v[10:11]
	s_cbranch_execnz .LBB19_50
.LBB19_49:                              ;   in Loop: Header=BB19_37 Depth=1
	global_load_b64 v[10:11], v[8:9], off
	global_load_b64 v[14:15], v[6:7], off
	s_waitcnt vmcnt(0)
	v_fma_f64 v[10:11], v[10:11], v[14:15], v[2:3]
.LBB19_50:                              ;   in Loop: Header=BB19_37 Depth=1
	s_delay_alu instid0(VALU_DEP_1)
	v_dual_mov_b32 v2, v10 :: v_dual_mov_b32 v3, v11
.LBB19_51:                              ;   in Loop: Header=BB19_37 Depth=1
	s_or_b32 exec_lo, exec_lo, s13
.LBB19_52:                              ;   in Loop: Header=BB19_37 Depth=1
	s_and_not1_saveexec_b32 s1, s1
	s_cbranch_execz .LBB19_35
; %bb.53:                               ;   in Loop: Header=BB19_37 Depth=1
	v_lshlrev_b64 v[10:11], 3, v[4:5]
	s_delay_alu instid0(VALU_DEP_1) | instskip(NEXT) | instid1(VALU_DEP_2)
	v_add_co_u32 v10, vcc_lo, v8, v10
	v_add_co_ci_u32_e32 v11, vcc_lo, v9, v11, vcc_lo
	global_load_b64 v[10:11], v[10:11], off
	global_load_b64 v[14:15], v[6:7], off
	s_waitcnt vmcnt(0)
	v_fma_f64 v[2:3], v[10:11], v[14:15], v[2:3]
	s_branch .LBB19_35
.LBB19_54:                              ;   in Loop: Header=BB19_37 Depth=1
                                        ; implicit-def: $vgpr10_vgpr11
	s_branch .LBB19_49
.LBB19_55:                              ;   in Loop: Header=BB19_37 Depth=1
                                        ; implicit-def: $vgpr10_vgpr11
	s_branch .LBB19_43
.LBB19_56:
	s_or_b32 exec_lo, exec_lo, s20
.LBB19_57:
	s_delay_alu instid0(SALU_CYCLE_1)
	s_or_b32 exec_lo, exec_lo, s24
.LBB19_58:
	v_add_nc_u32_e32 v1, s14, v13
	v_cmp_gt_u32_e32 vcc_lo, 64, v13
	v_lshlrev_b32_e32 v0, 3, v13
	s_delay_alu instid0(VALU_DEP_3)
	v_cmp_gt_i32_e64 s0, s17, v1
	ds_store_b64 v0, v[2:3]
	s_waitcnt lgkmcnt(0)
	s_barrier
	s_and_b32 s0, vcc_lo, s0
	buffer_gl0_inv
	s_and_saveexec_b32 s1, s0
	s_cbranch_execz .LBB19_60
; %bb.59:
	ds_load_2addr_stride64_b64 v[2:5], v0 offset1:1
	ds_load_2addr_stride64_b64 v[6:9], v0 offset0:2 offset1:3
	s_lshl_b64 s[0:1], s[8:9], 3
	s_delay_alu instid0(SALU_CYCLE_1) | instskip(SKIP_4) | instid1(VALU_DEP_1)
	s_add_u32 s0, s2, s0
	s_addc_u32 s1, s3, s1
	s_waitcnt lgkmcnt(1)
	v_add_f64 v[2:3], v[2:3], v[4:5]
	s_waitcnt lgkmcnt(0)
	v_add_f64 v[2:3], v[6:7], v[2:3]
	s_delay_alu instid0(VALU_DEP_1) | instskip(SKIP_4) | instid1(VALU_DEP_1)
	v_add_f64 v[10:11], v[8:9], v[2:3]
	ds_load_2addr_stride64_b64 v[2:5], v0 offset0:4 offset1:5
	ds_load_2addr_stride64_b64 v[6:9], v0 offset0:6 offset1:7
	s_waitcnt lgkmcnt(1)
	v_add_f64 v[2:3], v[2:3], v[10:11]
	v_add_f64 v[2:3], v[4:5], v[2:3]
	s_waitcnt lgkmcnt(0)
	s_delay_alu instid0(VALU_DEP_1) | instskip(NEXT) | instid1(VALU_DEP_1)
	v_add_f64 v[2:3], v[6:7], v[2:3]
	v_add_f64 v[10:11], v[8:9], v[2:3]
	ds_load_2addr_stride64_b64 v[2:5], v0 offset0:8 offset1:9
	ds_load_2addr_stride64_b64 v[6:9], v0 offset0:10 offset1:11
	s_waitcnt lgkmcnt(1)
	v_add_f64 v[2:3], v[2:3], v[10:11]
	s_delay_alu instid0(VALU_DEP_1) | instskip(SKIP_1) | instid1(VALU_DEP_1)
	v_add_f64 v[2:3], v[4:5], v[2:3]
	s_waitcnt lgkmcnt(0)
	v_add_f64 v[2:3], v[6:7], v[2:3]
	s_delay_alu instid0(VALU_DEP_1) | instskip(SKIP_4) | instid1(VALU_DEP_1)
	v_add_f64 v[10:11], v[8:9], v[2:3]
	ds_load_2addr_stride64_b64 v[2:5], v0 offset0:12 offset1:13
	ds_load_2addr_stride64_b64 v[6:9], v0 offset0:14 offset1:15
	s_waitcnt lgkmcnt(1)
	v_add_f64 v[2:3], v[2:3], v[10:11]
	v_add_f64 v[2:3], v[4:5], v[2:3]
	v_mad_u64_u32 v[4:5], null, v1, s10, 0
	s_waitcnt lgkmcnt(0)
	s_delay_alu instid0(VALU_DEP_2) | instskip(SKIP_2) | instid1(VALU_DEP_2)
	v_add_f64 v[2:3], v[6:7], v[2:3]
	v_ashrrev_i32_e32 v6, 31, v1
	v_mul_lo_u32 v7, v1, s11
	v_mul_lo_u32 v1, v6, s10
	s_delay_alu instid0(VALU_DEP_1) | instskip(NEXT) | instid1(VALU_DEP_1)
	v_add3_u32 v5, v5, v7, v1
	v_lshlrev_b64 v[4:5], 3, v[4:5]
	s_delay_alu instid0(VALU_DEP_1) | instskip(NEXT) | instid1(VALU_DEP_2)
	v_add_co_u32 v4, vcc_lo, s0, v4
	v_add_co_ci_u32_e32 v5, vcc_lo, s1, v5, vcc_lo
	v_add_f64 v[2:3], v[8:9], v[2:3]
	ds_store_b64 v0, v[2:3]
	global_store_b64 v[4:5], v[2:3], off
.LBB19_60:
	s_nop 0
	s_sendmsg sendmsg(MSG_DEALLOC_VGPRS)
	s_endpgm
	.section	.rodata,"a",@progbits
	.p2align	6, 0x0
	.amdhsa_kernel _ZL20rocblas_tbmvx_kernelILi64ELi16EPKPKdPKPdEv18rocblas_operation_bbiiT1_lllS8_T2_llli
		.amdhsa_group_segment_fixed_size 8192
		.amdhsa_private_segment_fixed_size 0
		.amdhsa_kernarg_size 352
		.amdhsa_user_sgpr_count 14
		.amdhsa_user_sgpr_dispatch_ptr 0
		.amdhsa_user_sgpr_queue_ptr 0
		.amdhsa_user_sgpr_kernarg_segment_ptr 1
		.amdhsa_user_sgpr_dispatch_id 0
		.amdhsa_user_sgpr_private_segment_size 0
		.amdhsa_wavefront_size32 1
		.amdhsa_uses_dynamic_stack 0
		.amdhsa_enable_private_segment 0
		.amdhsa_system_sgpr_workgroup_id_x 1
		.amdhsa_system_sgpr_workgroup_id_y 0
		.amdhsa_system_sgpr_workgroup_id_z 1
		.amdhsa_system_sgpr_workgroup_info 0
		.amdhsa_system_vgpr_workitem_id 1
		.amdhsa_next_free_vgpr 19
		.amdhsa_next_free_sgpr 28
		.amdhsa_reserve_vcc 1
		.amdhsa_float_round_mode_32 0
		.amdhsa_float_round_mode_16_64 0
		.amdhsa_float_denorm_mode_32 3
		.amdhsa_float_denorm_mode_16_64 3
		.amdhsa_dx10_clamp 1
		.amdhsa_ieee_mode 1
		.amdhsa_fp16_overflow 0
		.amdhsa_workgroup_processor_mode 1
		.amdhsa_memory_ordered 1
		.amdhsa_forward_progress 0
		.amdhsa_shared_vgpr_count 0
		.amdhsa_exception_fp_ieee_invalid_op 0
		.amdhsa_exception_fp_denorm_src 0
		.amdhsa_exception_fp_ieee_div_zero 0
		.amdhsa_exception_fp_ieee_overflow 0
		.amdhsa_exception_fp_ieee_underflow 0
		.amdhsa_exception_fp_ieee_inexact 0
		.amdhsa_exception_int_div_zero 0
	.end_amdhsa_kernel
	.section	.text._ZL20rocblas_tbmvx_kernelILi64ELi16EPKPKdPKPdEv18rocblas_operation_bbiiT1_lllS8_T2_llli,"axG",@progbits,_ZL20rocblas_tbmvx_kernelILi64ELi16EPKPKdPKPdEv18rocblas_operation_bbiiT1_lllS8_T2_llli,comdat
.Lfunc_end19:
	.size	_ZL20rocblas_tbmvx_kernelILi64ELi16EPKPKdPKPdEv18rocblas_operation_bbiiT1_lllS8_T2_llli, .Lfunc_end19-_ZL20rocblas_tbmvx_kernelILi64ELi16EPKPKdPKPdEv18rocblas_operation_bbiiT1_lllS8_T2_llli
                                        ; -- End function
	.section	.AMDGPU.csdata,"",@progbits
; Kernel info:
; codeLenInByte = 2056
; NumSgprs: 30
; NumVgprs: 19
; ScratchSize: 0
; MemoryBound: 1
; FloatMode: 240
; IeeeMode: 1
; LDSByteSize: 8192 bytes/workgroup (compile time only)
; SGPRBlocks: 3
; VGPRBlocks: 2
; NumSGPRsForWavesPerEU: 30
; NumVGPRsForWavesPerEU: 19
; Occupancy: 16
; WaveLimiterHint : 1
; COMPUTE_PGM_RSRC2:SCRATCH_EN: 0
; COMPUTE_PGM_RSRC2:USER_SGPR: 14
; COMPUTE_PGM_RSRC2:TRAP_HANDLER: 0
; COMPUTE_PGM_RSRC2:TGID_X_EN: 1
; COMPUTE_PGM_RSRC2:TGID_Y_EN: 0
; COMPUTE_PGM_RSRC2:TGID_Z_EN: 1
; COMPUTE_PGM_RSRC2:TIDIG_COMP_CNT: 1
	.section	.text._ZL19rocblas_copy_kernelIlLi256EPKP19rocblas_complex_numIfES4_EviT1_lT_lT2_lS6_li,"axG",@progbits,_ZL19rocblas_copy_kernelIlLi256EPKP19rocblas_complex_numIfES4_EviT1_lT_lT2_lS6_li,comdat
	.globl	_ZL19rocblas_copy_kernelIlLi256EPKP19rocblas_complex_numIfES4_EviT1_lT_lT2_lS6_li ; -- Begin function _ZL19rocblas_copy_kernelIlLi256EPKP19rocblas_complex_numIfES4_EviT1_lT_lT2_lS6_li
	.p2align	8
	.type	_ZL19rocblas_copy_kernelIlLi256EPKP19rocblas_complex_numIfES4_EviT1_lT_lT2_lS6_li,@function
_ZL19rocblas_copy_kernelIlLi256EPKP19rocblas_complex_numIfES4_EviT1_lT_lT2_lS6_li: ; @_ZL19rocblas_copy_kernelIlLi256EPKP19rocblas_complex_numIfES4_EviT1_lT_lT2_lS6_li
; %bb.0:
	s_load_b32 s4, s[0:1], 0x0
	v_lshl_or_b32 v0, s14, 8, v0
	v_mov_b32_e32 v1, 0
	s_mov_b32 s3, exec_lo
	s_waitcnt lgkmcnt(0)
	s_ashr_i32 s5, s4, 31
	s_delay_alu instid0(VALU_DEP_1) | instid1(SALU_CYCLE_1)
	v_cmpx_gt_i64_e64 s[4:5], v[0:1]
	s_cbranch_execz .LBB20_2
; %bb.1:
	s_clause 0x1
	s_load_b128 s[4:7], s[0:1], 0x28
	s_load_b64 s[8:9], s[0:1], 0x18
	s_mov_b32 s2, s15
	s_mov_b32 s3, 0
	s_load_b64 s[12:13], s[0:1], 0x38
	s_lshl_b64 s[10:11], s[2:3], 3
	s_waitcnt lgkmcnt(0)
	s_add_u32 s2, s4, s10
	s_addc_u32 s3, s5, s11
	s_lshl_b64 s[6:7], s[6:7], 3
	s_load_b64 s[4:5], s[2:3], 0x0
	s_load_b128 s[0:3], s[0:1], 0x8
	v_mad_u64_u32 v[1:2], null, v0, s8, 0
	s_delay_alu instid0(VALU_DEP_1) | instskip(NEXT) | instid1(VALU_DEP_1)
	v_mad_u64_u32 v[3:4], null, v0, s9, v[2:3]
	v_mov_b32_e32 v2, v3
	v_mad_u64_u32 v[3:4], null, v0, s12, 0
	s_waitcnt lgkmcnt(0)
	s_add_u32 s4, s4, s6
	s_addc_u32 s5, s5, s7
	s_add_u32 s0, s0, s10
	s_addc_u32 s1, s1, s11
	v_lshlrev_b64 v[1:2], 3, v[1:2]
	s_load_b64 s[0:1], s[0:1], 0x0
	s_lshl_b64 s[2:3], s[2:3], 3
	v_mad_u64_u32 v[5:6], null, v0, s13, v[4:5]
	s_delay_alu instid0(VALU_DEP_1) | instskip(NEXT) | instid1(VALU_DEP_1)
	v_mov_b32_e32 v4, v5
	v_lshlrev_b64 v[3:4], 3, v[3:4]
	s_waitcnt lgkmcnt(0)
	s_add_u32 s0, s0, s2
	s_addc_u32 s1, s1, s3
	v_add_co_u32 v1, vcc_lo, s0, v1
	v_add_co_ci_u32_e32 v2, vcc_lo, s1, v2, vcc_lo
	v_add_co_u32 v3, vcc_lo, s4, v3
	v_add_co_ci_u32_e32 v4, vcc_lo, s5, v4, vcc_lo
	global_load_b64 v[1:2], v[1:2], off
	s_waitcnt vmcnt(0)
	global_store_b64 v[3:4], v[1:2], off
.LBB20_2:
	s_nop 0
	s_sendmsg sendmsg(MSG_DEALLOC_VGPRS)
	s_endpgm
	.section	.rodata,"a",@progbits
	.p2align	6, 0x0
	.amdhsa_kernel _ZL19rocblas_copy_kernelIlLi256EPKP19rocblas_complex_numIfES4_EviT1_lT_lT2_lS6_li
		.amdhsa_group_segment_fixed_size 0
		.amdhsa_private_segment_fixed_size 0
		.amdhsa_kernarg_size 76
		.amdhsa_user_sgpr_count 14
		.amdhsa_user_sgpr_dispatch_ptr 0
		.amdhsa_user_sgpr_queue_ptr 0
		.amdhsa_user_sgpr_kernarg_segment_ptr 1
		.amdhsa_user_sgpr_dispatch_id 0
		.amdhsa_user_sgpr_private_segment_size 0
		.amdhsa_wavefront_size32 1
		.amdhsa_uses_dynamic_stack 0
		.amdhsa_enable_private_segment 0
		.amdhsa_system_sgpr_workgroup_id_x 1
		.amdhsa_system_sgpr_workgroup_id_y 0
		.amdhsa_system_sgpr_workgroup_id_z 1
		.amdhsa_system_sgpr_workgroup_info 0
		.amdhsa_system_vgpr_workitem_id 0
		.amdhsa_next_free_vgpr 7
		.amdhsa_next_free_sgpr 16
		.amdhsa_reserve_vcc 1
		.amdhsa_float_round_mode_32 0
		.amdhsa_float_round_mode_16_64 0
		.amdhsa_float_denorm_mode_32 3
		.amdhsa_float_denorm_mode_16_64 3
		.amdhsa_dx10_clamp 1
		.amdhsa_ieee_mode 1
		.amdhsa_fp16_overflow 0
		.amdhsa_workgroup_processor_mode 1
		.amdhsa_memory_ordered 1
		.amdhsa_forward_progress 0
		.amdhsa_shared_vgpr_count 0
		.amdhsa_exception_fp_ieee_invalid_op 0
		.amdhsa_exception_fp_denorm_src 0
		.amdhsa_exception_fp_ieee_div_zero 0
		.amdhsa_exception_fp_ieee_overflow 0
		.amdhsa_exception_fp_ieee_underflow 0
		.amdhsa_exception_fp_ieee_inexact 0
		.amdhsa_exception_int_div_zero 0
	.end_amdhsa_kernel
	.section	.text._ZL19rocblas_copy_kernelIlLi256EPKP19rocblas_complex_numIfES4_EviT1_lT_lT2_lS6_li,"axG",@progbits,_ZL19rocblas_copy_kernelIlLi256EPKP19rocblas_complex_numIfES4_EviT1_lT_lT2_lS6_li,comdat
.Lfunc_end20:
	.size	_ZL19rocblas_copy_kernelIlLi256EPKP19rocblas_complex_numIfES4_EviT1_lT_lT2_lS6_li, .Lfunc_end20-_ZL19rocblas_copy_kernelIlLi256EPKP19rocblas_complex_numIfES4_EviT1_lT_lT2_lS6_li
                                        ; -- End function
	.section	.AMDGPU.csdata,"",@progbits
; Kernel info:
; codeLenInByte = 284
; NumSgprs: 18
; NumVgprs: 7
; ScratchSize: 0
; MemoryBound: 0
; FloatMode: 240
; IeeeMode: 1
; LDSByteSize: 0 bytes/workgroup (compile time only)
; SGPRBlocks: 2
; VGPRBlocks: 0
; NumSGPRsForWavesPerEU: 18
; NumVGPRsForWavesPerEU: 7
; Occupancy: 16
; WaveLimiterHint : 1
; COMPUTE_PGM_RSRC2:SCRATCH_EN: 0
; COMPUTE_PGM_RSRC2:USER_SGPR: 14
; COMPUTE_PGM_RSRC2:TRAP_HANDLER: 0
; COMPUTE_PGM_RSRC2:TGID_X_EN: 1
; COMPUTE_PGM_RSRC2:TGID_Y_EN: 0
; COMPUTE_PGM_RSRC2:TGID_Z_EN: 1
; COMPUTE_PGM_RSRC2:TIDIG_COMP_CNT: 0
	.section	.text._ZL19rocblas_copy_kernelIiLi256EPKP19rocblas_complex_numIfES4_EviT1_lT_lT2_lS6_li,"axG",@progbits,_ZL19rocblas_copy_kernelIiLi256EPKP19rocblas_complex_numIfES4_EviT1_lT_lT2_lS6_li,comdat
	.globl	_ZL19rocblas_copy_kernelIiLi256EPKP19rocblas_complex_numIfES4_EviT1_lT_lT2_lS6_li ; -- Begin function _ZL19rocblas_copy_kernelIiLi256EPKP19rocblas_complex_numIfES4_EviT1_lT_lT2_lS6_li
	.p2align	8
	.type	_ZL19rocblas_copy_kernelIiLi256EPKP19rocblas_complex_numIfES4_EviT1_lT_lT2_lS6_li,@function
_ZL19rocblas_copy_kernelIiLi256EPKP19rocblas_complex_numIfES4_EviT1_lT_lT2_lS6_li: ; @_ZL19rocblas_copy_kernelIiLi256EPKP19rocblas_complex_numIfES4_EviT1_lT_lT2_lS6_li
; %bb.0:
	s_load_b32 s4, s[0:1], 0x0
	v_lshl_or_b32 v0, s14, 8, v0
	v_mov_b32_e32 v1, 0
	s_mov_b32 s3, exec_lo
	s_waitcnt lgkmcnt(0)
	s_ashr_i32 s5, s4, 31
	s_delay_alu instid0(VALU_DEP_1) | instid1(SALU_CYCLE_1)
	v_cmpx_gt_i64_e64 s[4:5], v[0:1]
	s_cbranch_execz .LBB21_2
; %bb.1:
	s_clause 0x2
	s_load_b32 s10, s[0:1], 0x18
	s_load_b32 s11, s[0:1], 0x38
	s_load_b128 s[4:7], s[0:1], 0x28
	s_mov_b32 s2, s15
	s_mov_b32 s3, 0
	s_delay_alu instid0(SALU_CYCLE_1)
	s_lshl_b64 s[8:9], s[2:3], 3
	s_waitcnt lgkmcnt(0)
	s_ashr_i32 s12, s10, 31
	s_ashr_i32 s13, s11, 31
	s_add_u32 s2, s4, s8
	s_addc_u32 s3, s5, s9
	s_lshl_b64 s[6:7], s[6:7], 3
	s_load_b64 s[4:5], s[2:3], 0x0
	s_load_b128 s[0:3], s[0:1], 0x8
	v_mad_u64_u32 v[1:2], null, s10, v0, 0
	s_delay_alu instid0(VALU_DEP_1) | instskip(NEXT) | instid1(VALU_DEP_1)
	v_mad_u64_u32 v[3:4], null, s12, v0, v[2:3]
	v_mov_b32_e32 v2, v3
	v_mad_u64_u32 v[3:4], null, s11, v0, 0
	s_waitcnt lgkmcnt(0)
	s_add_u32 s4, s4, s6
	s_addc_u32 s5, s5, s7
	s_add_u32 s0, s0, s8
	s_addc_u32 s1, s1, s9
	v_lshlrev_b64 v[1:2], 3, v[1:2]
	s_load_b64 s[0:1], s[0:1], 0x0
	s_lshl_b64 s[2:3], s[2:3], 3
	v_mad_u64_u32 v[5:6], null, s13, v0, v[4:5]
	s_delay_alu instid0(VALU_DEP_1) | instskip(NEXT) | instid1(VALU_DEP_1)
	v_mov_b32_e32 v4, v5
	v_lshlrev_b64 v[3:4], 3, v[3:4]
	s_waitcnt lgkmcnt(0)
	s_add_u32 s0, s0, s2
	s_addc_u32 s1, s1, s3
	v_add_co_u32 v1, vcc_lo, s0, v1
	v_add_co_ci_u32_e32 v2, vcc_lo, s1, v2, vcc_lo
	v_add_co_u32 v3, vcc_lo, s4, v3
	v_add_co_ci_u32_e32 v4, vcc_lo, s5, v4, vcc_lo
	global_load_b64 v[1:2], v[1:2], off
	s_waitcnt vmcnt(0)
	global_store_b64 v[3:4], v[1:2], off
.LBB21_2:
	s_nop 0
	s_sendmsg sendmsg(MSG_DEALLOC_VGPRS)
	s_endpgm
	.section	.rodata,"a",@progbits
	.p2align	6, 0x0
	.amdhsa_kernel _ZL19rocblas_copy_kernelIiLi256EPKP19rocblas_complex_numIfES4_EviT1_lT_lT2_lS6_li
		.amdhsa_group_segment_fixed_size 0
		.amdhsa_private_segment_fixed_size 0
		.amdhsa_kernarg_size 76
		.amdhsa_user_sgpr_count 14
		.amdhsa_user_sgpr_dispatch_ptr 0
		.amdhsa_user_sgpr_queue_ptr 0
		.amdhsa_user_sgpr_kernarg_segment_ptr 1
		.amdhsa_user_sgpr_dispatch_id 0
		.amdhsa_user_sgpr_private_segment_size 0
		.amdhsa_wavefront_size32 1
		.amdhsa_uses_dynamic_stack 0
		.amdhsa_enable_private_segment 0
		.amdhsa_system_sgpr_workgroup_id_x 1
		.amdhsa_system_sgpr_workgroup_id_y 0
		.amdhsa_system_sgpr_workgroup_id_z 1
		.amdhsa_system_sgpr_workgroup_info 0
		.amdhsa_system_vgpr_workitem_id 0
		.amdhsa_next_free_vgpr 7
		.amdhsa_next_free_sgpr 16
		.amdhsa_reserve_vcc 1
		.amdhsa_float_round_mode_32 0
		.amdhsa_float_round_mode_16_64 0
		.amdhsa_float_denorm_mode_32 3
		.amdhsa_float_denorm_mode_16_64 3
		.amdhsa_dx10_clamp 1
		.amdhsa_ieee_mode 1
		.amdhsa_fp16_overflow 0
		.amdhsa_workgroup_processor_mode 1
		.amdhsa_memory_ordered 1
		.amdhsa_forward_progress 0
		.amdhsa_shared_vgpr_count 0
		.amdhsa_exception_fp_ieee_invalid_op 0
		.amdhsa_exception_fp_denorm_src 0
		.amdhsa_exception_fp_ieee_div_zero 0
		.amdhsa_exception_fp_ieee_overflow 0
		.amdhsa_exception_fp_ieee_underflow 0
		.amdhsa_exception_fp_ieee_inexact 0
		.amdhsa_exception_int_div_zero 0
	.end_amdhsa_kernel
	.section	.text._ZL19rocblas_copy_kernelIiLi256EPKP19rocblas_complex_numIfES4_EviT1_lT_lT2_lS6_li,"axG",@progbits,_ZL19rocblas_copy_kernelIiLi256EPKP19rocblas_complex_numIfES4_EviT1_lT_lT2_lS6_li,comdat
.Lfunc_end21:
	.size	_ZL19rocblas_copy_kernelIiLi256EPKP19rocblas_complex_numIfES4_EviT1_lT_lT2_lS6_li, .Lfunc_end21-_ZL19rocblas_copy_kernelIiLi256EPKP19rocblas_complex_numIfES4_EviT1_lT_lT2_lS6_li
                                        ; -- End function
	.section	.AMDGPU.csdata,"",@progbits
; Kernel info:
; codeLenInByte = 296
; NumSgprs: 18
; NumVgprs: 7
; ScratchSize: 0
; MemoryBound: 0
; FloatMode: 240
; IeeeMode: 1
; LDSByteSize: 0 bytes/workgroup (compile time only)
; SGPRBlocks: 2
; VGPRBlocks: 0
; NumSGPRsForWavesPerEU: 18
; NumVGPRsForWavesPerEU: 7
; Occupancy: 16
; WaveLimiterHint : 1
; COMPUTE_PGM_RSRC2:SCRATCH_EN: 0
; COMPUTE_PGM_RSRC2:USER_SGPR: 14
; COMPUTE_PGM_RSRC2:TRAP_HANDLER: 0
; COMPUTE_PGM_RSRC2:TGID_X_EN: 1
; COMPUTE_PGM_RSRC2:TGID_Y_EN: 0
; COMPUTE_PGM_RSRC2:TGID_Z_EN: 1
; COMPUTE_PGM_RSRC2:TIDIG_COMP_CNT: 0
	.section	.text._ZL20rocblas_tbmvx_kernelILi64ELi16EPKPK19rocblas_complex_numIfEPKPS1_Ev18rocblas_operation_bbiiT1_lllSA_T2_llli,"axG",@progbits,_ZL20rocblas_tbmvx_kernelILi64ELi16EPKPK19rocblas_complex_numIfEPKPS1_Ev18rocblas_operation_bbiiT1_lllSA_T2_llli,comdat
	.globl	_ZL20rocblas_tbmvx_kernelILi64ELi16EPKPK19rocblas_complex_numIfEPKPS1_Ev18rocblas_operation_bbiiT1_lllSA_T2_llli ; -- Begin function _ZL20rocblas_tbmvx_kernelILi64ELi16EPKPK19rocblas_complex_numIfEPKPS1_Ev18rocblas_operation_bbiiT1_lllSA_T2_llli
	.p2align	8
	.type	_ZL20rocblas_tbmvx_kernelILi64ELi16EPKPK19rocblas_complex_numIfEPKPS1_Ev18rocblas_operation_bbiiT1_lllSA_T2_llli,@function
_ZL20rocblas_tbmvx_kernelILi64ELi16EPKPK19rocblas_complex_numIfEPKPS1_Ev18rocblas_operation_bbiiT1_lllSA_T2_llli: ; @_ZL20rocblas_tbmvx_kernelILi64ELi16EPKPK19rocblas_complex_numIfEPKPS1_Ev18rocblas_operation_bbiiT1_lllSA_T2_llli
; %bb.0:
	s_load_b64 s[2:3], s[0:1], 0x6c
	s_waitcnt lgkmcnt(0)
	s_lshr_b32 s4, s2, 16
	s_and_b32 s28, s2, 0xffff
	s_and_b32 s2, s3, 0xffff
	s_mul_i32 s3, s4, s28
	s_delay_alu instid0(SALU_CYCLE_1) | instskip(NEXT) | instid1(SALU_CYCLE_1)
	s_mul_i32 s3, s3, s2
	s_cmpk_lg_i32 s3, 0x400
	s_cbranch_scc1 .LBB22_76
; %bb.1:
	s_clause 0x3
	s_load_b64 s[26:27], s[0:1], 0x0
	s_load_b128 s[16:19], s[0:1], 0x4
	s_load_b128 s[20:23], s[0:1], 0x10
	s_load_b256 s[4:11], s[0:1], 0x30
	s_mov_b32 s24, s15
	s_mov_b32 s25, 0
	s_load_b64 s[12:13], s[0:1], 0x20
	v_and_b32_e32 v1, 0x3ff, v0
	v_bfe_u32 v0, v0, 10, 10
	s_delay_alu instid0(VALU_DEP_1) | instskip(NEXT) | instid1(VALU_DEP_1)
	v_mad_u32_u24 v14, v0, s28, v1
	v_and_b32_e32 v15, 63, v14
	v_lshrrev_b32_e32 v0, 6, v14
	s_waitcnt lgkmcnt(0)
	s_bitcmp1_b32 s27, 0
	s_cselect_b32 s15, -1, 0
	s_bitcmp1_b32 s16, 8
	s_cselect_b32 s16, -1, 0
	s_lshl_b64 s[0:1], s[24:25], 3
	s_delay_alu instid0(SALU_CYCLE_1)
	s_add_u32 s2, s20, s0
	s_addc_u32 s3, s21, s1
	s_add_u32 s4, s4, s0
	s_addc_u32 s5, s5, s1
	;; [unrolled: 2-line block ×3, first 2 shown]
	s_load_b64 s[20:21], s[2:3], 0x0
	s_load_b64 s[4:5], s[4:5], 0x0
	;; [unrolled: 1-line block ×3, first 2 shown]
	s_lshl_b32 s14, s14, 6
	s_cmpk_lg_i32 s26, 0x6f
	v_or_b32_e32 v3, s14, v15
	s_cbranch_scc0 .LBB22_4
; %bb.2:
	v_mov_b32_e32 v1, 0
	v_cmp_ge_i32_e64 s0, s18, v0
	s_delay_alu instid0(VALU_DEP_2) | instskip(SKIP_1) | instid1(VALU_DEP_3)
	v_cmp_gt_i64_e32 vcc_lo, s[12:13], v[0:1]
	v_mov_b32_e32 v2, v1
	s_and_b32 s0, s0, vcc_lo
	s_delay_alu instid0(SALU_CYCLE_1)
	s_and_saveexec_b32 s6, s0
	s_cbranch_execz .LBB22_48
; %bb.3:
	v_ashrrev_i32_e32 v4, 31, v3
	v_mul_lo_u32 v2, v3, s13
	v_mad_u64_u32 v[5:6], null, v3, s12, 0
	s_xor_b32 s7, s15, -1
	s_delay_alu instid0(VALU_DEP_3)
	v_mul_lo_u32 v7, v4, s12
	s_xor_b32 s19, s16, -1
	s_cmpk_lg_i32 s26, 0x71
	v_cmp_gt_i32_e64 s0, s17, v3
	s_cselect_b32 s24, -1, 0
	s_lshl_b64 s[26:27], s[22:23], 3
	v_xad_u32 v16, v3, -1, s17
	s_waitcnt lgkmcnt(0)
	s_add_u32 s1, s20, s26
	v_add3_u32 v6, v6, v2, v7
	v_lshlrev_b64 v[7:8], 3, v[3:4]
	s_addc_u32 s26, s21, s27
	v_mov_b32_e32 v2, 0
	v_sub_nc_u32_e32 v17, s18, v3
	v_lshlrev_b64 v[5:6], 3, v[5:6]
	s_delay_alu instid0(VALU_DEP_1) | instskip(NEXT) | instid1(VALU_DEP_2)
	v_add_co_u32 v4, vcc_lo, s1, v5
	v_add_co_ci_u32_e32 v5, vcc_lo, s26, v6, vcc_lo
	v_add_co_u32 v6, vcc_lo, s4, v7
	v_add_co_ci_u32_e32 v7, vcc_lo, s5, v8, vcc_lo
	v_dual_mov_b32 v9, v1 :: v_dual_mov_b32 v8, v0
	v_mov_b32_e32 v1, v2
	s_mov_b32 s26, 0
	s_branch .LBB22_10
.LBB22_4:
                                        ; implicit-def: $vgpr1
	s_branch .LBB22_49
.LBB22_5:                               ;   in Loop: Header=BB22_10 Depth=1
	s_delay_alu instid0(VALU_DEP_1)
	v_dual_mov_b32 v2, v10 :: v_dual_mov_b32 v1, v9
.LBB22_6:                               ;   in Loop: Header=BB22_10 Depth=1
	s_or_b32 exec_lo, exec_lo, s28
.LBB22_7:                               ;   in Loop: Header=BB22_10 Depth=1
	s_delay_alu instid0(SALU_CYCLE_1) | instskip(NEXT) | instid1(VALU_DEP_1)
	s_or_b32 exec_lo, exec_lo, s1
	v_dual_mov_b32 v10, v2 :: v_dual_mov_b32 v11, v1
.LBB22_8:                               ;   in Loop: Header=BB22_10 Depth=1
	s_delay_alu instid0(VALU_DEP_1)
	v_dual_mov_b32 v1, v11 :: v_dual_mov_b32 v2, v10
.LBB22_9:                               ;   in Loop: Header=BB22_10 Depth=1
	s_or_b32 exec_lo, exec_lo, s27
	v_add_nc_u32_e32 v8, 16, v8
	s_delay_alu instid0(VALU_DEP_1) | instskip(SKIP_1) | instid1(VALU_DEP_2)
	v_ashrrev_i32_e32 v9, 31, v8
	v_cmp_lt_i32_e64 s1, s18, v8
	v_cmp_le_i64_e32 vcc_lo, s[12:13], v[8:9]
	s_delay_alu instid0(VALU_DEP_2) | instskip(NEXT) | instid1(SALU_CYCLE_1)
	s_or_b32 s1, s1, vcc_lo
	s_and_b32 s1, exec_lo, s1
	s_delay_alu instid0(SALU_CYCLE_1) | instskip(NEXT) | instid1(SALU_CYCLE_1)
	s_or_b32 s26, s1, s26
	s_and_not1_b32 exec_lo, exec_lo, s26
	s_cbranch_execz .LBB22_47
.LBB22_10:                              ; =>This Inner Loop Header: Depth=1
	s_and_saveexec_b32 s27, s0
	s_cbranch_execz .LBB22_9
; %bb.11:                               ;   in Loop: Header=BB22_10 Depth=1
	s_and_b32 vcc_lo, exec_lo, s7
	s_cbranch_vccz .LBB22_17
; %bb.12:                               ;   in Loop: Header=BB22_10 Depth=1
	v_cmp_gt_i64_e32 vcc_lo, 1, v[8:9]
	v_cmp_lt_i32_e64 s1, v16, v8
                                        ; implicit-def: $vgpr10
                                        ; implicit-def: $vgpr11
	s_delay_alu instid0(VALU_DEP_1) | instskip(NEXT) | instid1(SALU_CYCLE_1)
	s_or_b32 s1, vcc_lo, s1
	s_and_saveexec_b32 s28, s1
	s_delay_alu instid0(SALU_CYCLE_1)
	s_xor_b32 s1, exec_lo, s28
	s_cbranch_execz .LBB22_24
; %bb.13:                               ;   in Loop: Header=BB22_10 Depth=1
	v_dual_mov_b32 v10, v2 :: v_dual_mov_b32 v11, v1
	s_mov_b32 s28, exec_lo
	v_cmpx_eq_u64_e32 0, v[8:9]
	s_cbranch_execz .LBB22_23
; %bb.14:                               ;   in Loop: Header=BB22_10 Depth=1
	s_and_b32 vcc_lo, exec_lo, s19
	s_cbranch_vccz .LBB22_18
; %bb.15:                               ;   in Loop: Header=BB22_10 Depth=1
	s_and_b32 vcc_lo, exec_lo, s24
	s_cbranch_vccz .LBB22_19
; %bb.16:                               ;   in Loop: Header=BB22_10 Depth=1
	global_load_b64 v[10:11], v[4:5], off
	s_cbranch_execz .LBB22_20
	s_branch .LBB22_21
.LBB22_17:                              ;   in Loop: Header=BB22_10 Depth=1
                                        ; implicit-def: $vgpr10
                                        ; implicit-def: $vgpr11
	s_branch .LBB22_31
.LBB22_18:                              ;   in Loop: Header=BB22_10 Depth=1
                                        ; implicit-def: $vgpr10
                                        ; implicit-def: $vgpr11
	s_cbranch_execnz .LBB22_22
	s_branch .LBB22_23
.LBB22_19:                              ;   in Loop: Header=BB22_10 Depth=1
                                        ; implicit-def: $vgpr10
.LBB22_20:                              ;   in Loop: Header=BB22_10 Depth=1
	global_load_b64 v[10:11], v[4:5], off
	s_waitcnt vmcnt(0)
	v_xor_b32_e32 v11, 0x80000000, v11
.LBB22_21:                              ;   in Loop: Header=BB22_10 Depth=1
	global_load_b64 v[12:13], v[6:7], off
	s_waitcnt vmcnt(0)
	v_mul_f32_e32 v18, v13, v11
	v_mul_f32_e32 v13, v13, v10
	s_delay_alu instid0(VALU_DEP_2) | instskip(NEXT) | instid1(VALU_DEP_2)
	v_fma_f32 v10, v12, v10, -v18
	v_fmac_f32_e32 v13, v12, v11
	s_delay_alu instid0(VALU_DEP_1)
	v_dual_add_f32 v11, v1, v10 :: v_dual_add_f32 v10, v2, v13
	s_branch .LBB22_23
.LBB22_22:                              ;   in Loop: Header=BB22_10 Depth=1
	global_load_b64 v[11:12], v[6:7], off
	s_waitcnt vmcnt(0)
	v_dual_add_f32 v11, v1, v11 :: v_dual_add_f32 v10, v2, v12
.LBB22_23:                              ;   in Loop: Header=BB22_10 Depth=1
	s_or_b32 exec_lo, exec_lo, s28
.LBB22_24:                              ;   in Loop: Header=BB22_10 Depth=1
	s_and_not1_saveexec_b32 s1, s1
	s_cbranch_execz .LBB22_30
; %bb.25:                               ;   in Loop: Header=BB22_10 Depth=1
	v_lshlrev_b64 v[10:11], 3, v[8:9]
	s_delay_alu instid0(VALU_DEP_1) | instskip(NEXT) | instid1(VALU_DEP_2)
	v_add_co_u32 v12, vcc_lo, v4, v10
	v_add_co_ci_u32_e32 v13, vcc_lo, v5, v11, vcc_lo
	s_and_b32 vcc_lo, exec_lo, s24
	s_cbranch_vccz .LBB22_27
; %bb.26:                               ;   in Loop: Header=BB22_10 Depth=1
	global_load_b64 v[10:11], v[12:13], off
	s_cbranch_execz .LBB22_28
	s_branch .LBB22_29
.LBB22_27:                              ;   in Loop: Header=BB22_10 Depth=1
                                        ; implicit-def: $vgpr10
.LBB22_28:                              ;   in Loop: Header=BB22_10 Depth=1
	global_load_b64 v[10:11], v[12:13], off
	s_waitcnt vmcnt(0)
	v_xor_b32_e32 v11, 0x80000000, v11
.LBB22_29:                              ;   in Loop: Header=BB22_10 Depth=1
	v_add_nc_u32_e32 v12, v3, v8
	s_delay_alu instid0(VALU_DEP_1) | instskip(NEXT) | instid1(VALU_DEP_1)
	v_ashrrev_i32_e32 v13, 31, v12
	v_lshlrev_b64 v[12:13], 3, v[12:13]
	s_delay_alu instid0(VALU_DEP_1) | instskip(NEXT) | instid1(VALU_DEP_2)
	v_add_co_u32 v12, vcc_lo, s4, v12
	v_add_co_ci_u32_e32 v13, vcc_lo, s5, v13, vcc_lo
	global_load_b64 v[12:13], v[12:13], off
	s_waitcnt vmcnt(0)
	v_mul_f32_e32 v18, v13, v11
	v_mul_f32_e32 v13, v13, v10
	s_delay_alu instid0(VALU_DEP_2) | instskip(NEXT) | instid1(VALU_DEP_2)
	v_fma_f32 v10, v12, v10, -v18
	v_fmac_f32_e32 v13, v12, v11
	s_delay_alu instid0(VALU_DEP_1)
	v_dual_add_f32 v11, v1, v10 :: v_dual_add_f32 v10, v2, v13
.LBB22_30:                              ;   in Loop: Header=BB22_10 Depth=1
	s_or_b32 exec_lo, exec_lo, s1
	s_cbranch_execnz .LBB22_8
.LBB22_31:                              ;   in Loop: Header=BB22_10 Depth=1
	v_cmp_gt_i32_e32 vcc_lo, s18, v8
	v_cmp_ge_i32_e64 s1, v8, v17
	s_delay_alu instid0(VALU_DEP_1) | instskip(NEXT) | instid1(SALU_CYCLE_1)
	s_and_b32 s1, vcc_lo, s1
	s_and_saveexec_b32 s28, s1
	s_delay_alu instid0(SALU_CYCLE_1)
	s_xor_b32 s1, exec_lo, s28
	s_cbranch_execz .LBB22_37
; %bb.32:                               ;   in Loop: Header=BB22_10 Depth=1
	v_lshlrev_b64 v[10:11], 3, v[8:9]
	s_delay_alu instid0(VALU_DEP_1) | instskip(NEXT) | instid1(VALU_DEP_2)
	v_add_co_u32 v12, vcc_lo, v4, v10
	v_add_co_ci_u32_e32 v13, vcc_lo, v5, v11, vcc_lo
	s_and_b32 vcc_lo, exec_lo, s24
	s_cbranch_vccz .LBB22_34
; %bb.33:                               ;   in Loop: Header=BB22_10 Depth=1
	global_load_b64 v[10:11], v[12:13], off
	s_cbranch_execz .LBB22_35
	s_branch .LBB22_36
.LBB22_34:                              ;   in Loop: Header=BB22_10 Depth=1
                                        ; implicit-def: $vgpr11
.LBB22_35:                              ;   in Loop: Header=BB22_10 Depth=1
	global_load_b64 v[10:11], v[12:13], off
	s_waitcnt vmcnt(0)
	v_xor_b32_e32 v11, 0x80000000, v11
.LBB22_36:                              ;   in Loop: Header=BB22_10 Depth=1
	v_sub_nc_u32_e32 v12, v8, v17
	s_delay_alu instid0(VALU_DEP_1) | instskip(NEXT) | instid1(VALU_DEP_1)
	v_ashrrev_i32_e32 v13, 31, v12
	v_lshlrev_b64 v[12:13], 3, v[12:13]
	s_delay_alu instid0(VALU_DEP_1) | instskip(NEXT) | instid1(VALU_DEP_2)
	v_add_co_u32 v12, vcc_lo, s4, v12
	v_add_co_ci_u32_e32 v13, vcc_lo, s5, v13, vcc_lo
	global_load_b64 v[12:13], v[12:13], off
	s_waitcnt vmcnt(0)
	v_mul_f32_e32 v18, v13, v11
	v_mul_f32_e32 v13, v13, v10
	s_delay_alu instid0(VALU_DEP_2) | instskip(NEXT) | instid1(VALU_DEP_2)
	v_fma_f32 v10, v12, v10, -v18
	v_fmac_f32_e32 v13, v12, v11
	s_delay_alu instid0(VALU_DEP_1)
	v_dual_add_f32 v1, v1, v10 :: v_dual_add_f32 v2, v2, v13
.LBB22_37:                              ;   in Loop: Header=BB22_10 Depth=1
	s_and_not1_saveexec_b32 s1, s1
	s_cbranch_execz .LBB22_7
; %bb.38:                               ;   in Loop: Header=BB22_10 Depth=1
	s_mov_b32 s28, exec_lo
	v_cmpx_eq_u32_e64 s18, v8
	s_cbranch_execz .LBB22_6
; %bb.39:                               ;   in Loop: Header=BB22_10 Depth=1
	s_and_b32 vcc_lo, exec_lo, s19
	s_cbranch_vccz .LBB22_42
; %bb.40:                               ;   in Loop: Header=BB22_10 Depth=1
	v_lshlrev_b64 v[9:10], 3, v[8:9]
	s_delay_alu instid0(VALU_DEP_1) | instskip(NEXT) | instid1(VALU_DEP_2)
	v_add_co_u32 v11, vcc_lo, v4, v9
	v_add_co_ci_u32_e32 v12, vcc_lo, v5, v10, vcc_lo
	s_and_b32 vcc_lo, exec_lo, s24
	s_cbranch_vccz .LBB22_43
; %bb.41:                               ;   in Loop: Header=BB22_10 Depth=1
	global_load_b64 v[9:10], v[11:12], off
	s_cbranch_execz .LBB22_44
	s_branch .LBB22_45
.LBB22_42:                              ;   in Loop: Header=BB22_10 Depth=1
                                        ; implicit-def: $vgpr10
                                        ; implicit-def: $vgpr9
	s_cbranch_execz .LBB22_5
	s_branch .LBB22_46
.LBB22_43:                              ;   in Loop: Header=BB22_10 Depth=1
                                        ; implicit-def: $vgpr9
.LBB22_44:                              ;   in Loop: Header=BB22_10 Depth=1
	global_load_b64 v[9:10], v[11:12], off
	s_waitcnt vmcnt(0)
	v_xor_b32_e32 v10, 0x80000000, v10
.LBB22_45:                              ;   in Loop: Header=BB22_10 Depth=1
	global_load_b64 v[11:12], v[6:7], off
	s_waitcnt vmcnt(0)
	v_mul_f32_e32 v13, v12, v10
	v_mul_f32_e32 v12, v12, v9
	s_delay_alu instid0(VALU_DEP_1) | instskip(NEXT) | instid1(VALU_DEP_1)
	v_fmac_f32_e32 v12, v11, v10
	v_add_f32_e32 v10, v2, v12
	s_delay_alu instid0(VALU_DEP_4) | instskip(NEXT) | instid1(VALU_DEP_1)
	v_fma_f32 v9, v11, v9, -v13
	v_add_f32_e32 v9, v1, v9
	s_branch .LBB22_5
.LBB22_46:                              ;   in Loop: Header=BB22_10 Depth=1
	global_load_b64 v[9:10], v[6:7], off
	s_waitcnt vmcnt(0)
	v_dual_add_f32 v9, v1, v9 :: v_dual_add_f32 v10, v2, v10
	s_branch .LBB22_5
.LBB22_47:
	s_or_b32 exec_lo, exec_lo, s26
.LBB22_48:
	s_delay_alu instid0(SALU_CYCLE_1) | instskip(NEXT) | instid1(SALU_CYCLE_1)
	s_or_b32 exec_lo, exec_lo, s6
	s_and_not1_b32 vcc_lo, exec_lo, s25
	s_cbranch_vccnz .LBB22_74
.LBB22_49:
	v_dual_mov_b32 v1, 0 :: v_dual_mov_b32 v2, 0
	s_mov_b32 s25, 0
	s_mov_b32 s24, exec_lo
	v_cmpx_gt_i32_e64 s17, v0
	s_cbranch_execz .LBB22_73
; %bb.50:
	v_mad_u64_u32 v[1:2], null, s12, v0, 0
	s_and_b32 s0, s15, exec_lo
	v_cmp_gt_i32_e64 s0, s17, v3
	v_dual_mov_b32 v4, 0 :: v_dual_lshlrev_b32 v3, 3, v0
	s_cselect_b32 s1, s18, 0
	s_and_b32 s6, s15, s16
	s_xor_b32 s7, s16, -1
	s_delay_alu instid0(VALU_DEP_1)
	v_mad_u64_u32 v[5:6], null, s13, v0, v[2:3]
	s_xor_b32 s16, s6, -1
	s_cmp_lg_u32 s18, 0
	v_add3_u32 v6, s1, s14, v15
	s_cselect_b32 s1, -1, 0
	s_waitcnt lgkmcnt(0)
	v_add_co_u32 v7, s4, v3, s4
	s_delay_alu instid0(VALU_DEP_3) | instskip(SKIP_3) | instid1(VALU_DEP_2)
	v_mov_b32_e32 v2, v5
	s_and_b32 s1, s1, s15
	v_add_co_ci_u32_e64 v8, null, 0, s5, s4
	s_or_b32 s1, s1, s7
	v_lshlrev_b64 v[1:2], 3, v[1:2]
	s_lshl_b64 s[4:5], s[22:23], 3
	s_ashr_i32 s19, s18, 31
	s_xor_b32 s15, s1, -1
	v_add_co_u32 v5, vcc_lo, v7, 4
	s_add_u32 s1, s20, s4
	v_sub_nc_u32_e32 v3, v6, v0
	v_add_co_ci_u32_e32 v6, vcc_lo, 0, v8, vcc_lo
	s_addc_u32 s4, s21, s5
	v_add_co_u32 v7, vcc_lo, s1, v1
	v_mov_b32_e32 v1, v4
	v_add_co_ci_u32_e32 v8, vcc_lo, s4, v2, vcc_lo
	v_mov_b32_e32 v2, v4
	s_lshl_b64 s[4:5], s[12:13], 7
	s_lshl_b64 s[6:7], s[18:19], 3
	s_branch .LBB22_53
.LBB22_51:                              ;   in Loop: Header=BB22_53 Depth=1
	s_or_b32 exec_lo, exec_lo, s1
.LBB22_52:                              ;   in Loop: Header=BB22_53 Depth=1
	s_delay_alu instid0(SALU_CYCLE_1) | instskip(SKIP_3) | instid1(VALU_DEP_3)
	s_or_b32 exec_lo, exec_lo, s12
	v_add_nc_u32_e32 v0, 16, v0
	v_add_co_u32 v5, vcc_lo, 0x80, v5
	v_add_co_ci_u32_e32 v6, vcc_lo, 0, v6, vcc_lo
	v_cmp_le_i32_e32 vcc_lo, s17, v0
	v_add_co_u32 v7, s1, v7, s4
	v_add_nc_u32_e32 v3, -16, v3
	v_add_co_ci_u32_e64 v8, s1, s5, v8, s1
	s_or_b32 s25, vcc_lo, s25
	s_delay_alu instid0(SALU_CYCLE_1)
	s_and_not1_b32 exec_lo, exec_lo, s25
	s_cbranch_execz .LBB22_72
.LBB22_53:                              ; =>This Inner Loop Header: Depth=1
	s_and_saveexec_b32 s12, s0
	s_cbranch_execz .LBB22_52
; %bb.54:                               ;   in Loop: Header=BB22_53 Depth=1
	v_cmp_le_i32_e32 vcc_lo, s18, v3
	v_cmp_gt_i32_e64 s1, 1, v3
	s_delay_alu instid0(VALU_DEP_1) | instskip(NEXT) | instid1(SALU_CYCLE_1)
	s_or_b32 s1, vcc_lo, s1
	s_and_saveexec_b32 s13, s1
	s_delay_alu instid0(SALU_CYCLE_1)
	s_xor_b32 s1, exec_lo, s13
	s_cbranch_execz .LBB22_68
; %bb.55:                               ;   in Loop: Header=BB22_53 Depth=1
	s_mov_b32 s13, exec_lo
	v_cmpx_ne_u32_e32 0, v3
	s_xor_b32 s13, exec_lo, s13
	s_cbranch_execz .LBB22_62
; %bb.56:                               ;   in Loop: Header=BB22_53 Depth=1
	s_mov_b32 s19, exec_lo
	v_cmpx_eq_u32_e64 s18, v3
	s_cbranch_execz .LBB22_61
; %bb.57:                               ;   in Loop: Header=BB22_53 Depth=1
	s_and_b32 vcc_lo, exec_lo, s16
	s_cbranch_vccz .LBB22_71
; %bb.58:                               ;   in Loop: Header=BB22_53 Depth=1
	v_add_co_u32 v9, vcc_lo, v7, s6
	v_add_co_ci_u32_e32 v10, vcc_lo, s7, v8, vcc_lo
	global_load_b64 v[11:12], v[5:6], off offset:-4
	global_load_b64 v[9:10], v[9:10], off
	s_waitcnt vmcnt(0)
	v_mul_f32_e32 v13, v12, v10
	v_mul_f32_e32 v10, v11, v10
	s_delay_alu instid0(VALU_DEP_2) | instskip(NEXT) | instid1(VALU_DEP_1)
	v_fma_f32 v11, v11, v9, -v13
	v_dual_fmac_f32 v10, v12, v9 :: v_dual_add_f32 v9, v1, v11
	s_delay_alu instid0(VALU_DEP_1)
	v_add_f32_e32 v10, v2, v10
	s_cbranch_execnz .LBB22_60
.LBB22_59:                              ;   in Loop: Header=BB22_53 Depth=1
	global_load_b64 v[9:10], v[5:6], off offset:-4
	s_waitcnt vmcnt(0)
	v_dual_add_f32 v9, v1, v9 :: v_dual_add_f32 v10, v2, v10
.LBB22_60:                              ;   in Loop: Header=BB22_53 Depth=1
	s_delay_alu instid0(VALU_DEP_1)
	v_dual_mov_b32 v2, v10 :: v_dual_mov_b32 v1, v9
.LBB22_61:                              ;   in Loop: Header=BB22_53 Depth=1
	s_or_b32 exec_lo, exec_lo, s19
.LBB22_62:                              ;   in Loop: Header=BB22_53 Depth=1
	s_and_not1_saveexec_b32 s13, s13
	s_cbranch_execz .LBB22_67
; %bb.63:                               ;   in Loop: Header=BB22_53 Depth=1
	s_and_not1_b32 vcc_lo, exec_lo, s15
	s_cbranch_vccnz .LBB22_70
; %bb.64:                               ;   in Loop: Header=BB22_53 Depth=1
	global_load_b64 v[9:10], v[5:6], off offset:-4
	s_waitcnt vmcnt(0)
	v_dual_add_f32 v9, v1, v9 :: v_dual_add_f32 v10, v2, v10
	s_cbranch_execnz .LBB22_66
.LBB22_65:                              ;   in Loop: Header=BB22_53 Depth=1
	global_load_b64 v[9:10], v[7:8], off
	global_load_b64 v[11:12], v[5:6], off offset:-4
	s_waitcnt vmcnt(0)
	v_mul_f32_e32 v13, v12, v10
	v_mul_f32_e32 v10, v11, v10
	s_delay_alu instid0(VALU_DEP_2) | instskip(NEXT) | instid1(VALU_DEP_1)
	v_fma_f32 v11, v11, v9, -v13
	v_dual_fmac_f32 v10, v12, v9 :: v_dual_add_f32 v9, v1, v11
	s_delay_alu instid0(VALU_DEP_1)
	v_add_f32_e32 v10, v2, v10
.LBB22_66:                              ;   in Loop: Header=BB22_53 Depth=1
	s_delay_alu instid0(VALU_DEP_1)
	v_dual_mov_b32 v2, v10 :: v_dual_mov_b32 v1, v9
.LBB22_67:                              ;   in Loop: Header=BB22_53 Depth=1
	s_or_b32 exec_lo, exec_lo, s13
.LBB22_68:                              ;   in Loop: Header=BB22_53 Depth=1
	s_and_not1_saveexec_b32 s1, s1
	s_cbranch_execz .LBB22_51
; %bb.69:                               ;   in Loop: Header=BB22_53 Depth=1
	v_lshlrev_b64 v[9:10], 3, v[3:4]
	s_delay_alu instid0(VALU_DEP_1) | instskip(NEXT) | instid1(VALU_DEP_2)
	v_add_co_u32 v9, vcc_lo, v7, v9
	v_add_co_ci_u32_e32 v10, vcc_lo, v8, v10, vcc_lo
	global_load_b64 v[11:12], v[5:6], off offset:-4
	global_load_b64 v[9:10], v[9:10], off
	s_waitcnt vmcnt(0)
	v_mul_f32_e32 v13, v12, v10
	v_mul_f32_e32 v10, v11, v10
	s_delay_alu instid0(VALU_DEP_2) | instskip(NEXT) | instid1(VALU_DEP_1)
	v_fma_f32 v11, v11, v9, -v13
	v_dual_add_f32 v1, v1, v11 :: v_dual_fmac_f32 v10, v12, v9
	s_delay_alu instid0(VALU_DEP_1)
	v_add_f32_e32 v2, v2, v10
	s_branch .LBB22_51
.LBB22_70:                              ;   in Loop: Header=BB22_53 Depth=1
                                        ; implicit-def: $vgpr10
                                        ; implicit-def: $vgpr9
	s_branch .LBB22_65
.LBB22_71:                              ;   in Loop: Header=BB22_53 Depth=1
                                        ; implicit-def: $vgpr10
                                        ; implicit-def: $vgpr9
	s_branch .LBB22_59
.LBB22_72:
	s_or_b32 exec_lo, exec_lo, s25
.LBB22_73:
	s_delay_alu instid0(SALU_CYCLE_1)
	s_or_b32 exec_lo, exec_lo, s24
.LBB22_74:
	v_add_nc_u32_e32 v3, s14, v14
	v_cmp_gt_u32_e32 vcc_lo, 64, v14
	v_lshlrev_b32_e32 v0, 3, v14
	s_delay_alu instid0(VALU_DEP_3)
	v_cmp_gt_i32_e64 s0, s17, v3
	ds_store_b64 v0, v[1:2]
	s_waitcnt lgkmcnt(0)
	s_barrier
	s_and_b32 s0, vcc_lo, s0
	buffer_gl0_inv
	s_and_saveexec_b32 s1, s0
	s_cbranch_execz .LBB22_76
; %bb.75:
	ds_load_2addr_stride64_b64 v[4:7], v0 offset1:1
	ds_load_2addr_stride64_b64 v[8:11], v0 offset0:2 offset1:3
	ds_load_2addr_stride64_b64 v[12:15], v0 offset0:4 offset1:5
	s_lshl_b64 s[0:1], s[8:9], 3
	s_delay_alu instid0(SALU_CYCLE_1)
	s_add_u32 s0, s2, s0
	s_addc_u32 s1, s3, s1
	s_waitcnt lgkmcnt(2)
	v_dual_add_f32 v1, v4, v6 :: v_dual_add_f32 v2, v5, v7
	ds_load_2addr_stride64_b64 v[4:7], v0 offset0:6 offset1:7
	s_waitcnt lgkmcnt(2)
	v_dual_add_f32 v1, v1, v8 :: v_dual_add_f32 v2, v2, v9
	s_delay_alu instid0(VALU_DEP_1) | instskip(SKIP_3) | instid1(VALU_DEP_1)
	v_dual_add_f32 v1, v1, v10 :: v_dual_add_f32 v2, v2, v11
	ds_load_2addr_stride64_b64 v[8:11], v0 offset0:8 offset1:9
	s_waitcnt lgkmcnt(2)
	v_dual_add_f32 v1, v1, v12 :: v_dual_add_f32 v2, v2, v13
	v_dual_add_f32 v1, v1, v14 :: v_dual_add_f32 v2, v2, v15
	ds_load_2addr_stride64_b64 v[12:15], v0 offset0:10 offset1:11
	s_waitcnt lgkmcnt(2)
	v_dual_add_f32 v1, v1, v4 :: v_dual_add_f32 v2, v2, v5
	s_delay_alu instid0(VALU_DEP_1) | instskip(SKIP_3) | instid1(VALU_DEP_1)
	v_dual_add_f32 v1, v1, v6 :: v_dual_add_f32 v2, v2, v7
	ds_load_2addr_stride64_b64 v[4:7], v0 offset0:12 offset1:13
	s_waitcnt lgkmcnt(2)
	v_dual_add_f32 v1, v1, v8 :: v_dual_add_f32 v2, v2, v9
	v_dual_add_f32 v1, v1, v10 :: v_dual_add_f32 v2, v2, v11
	ds_load_2addr_stride64_b64 v[8:11], v0 offset0:14 offset1:15
	s_waitcnt lgkmcnt(2)
	v_dual_add_f32 v1, v1, v12 :: v_dual_add_f32 v2, v2, v13
	v_ashrrev_i32_e32 v12, 31, v3
	v_mul_lo_u32 v13, v3, s11
	s_delay_alu instid0(VALU_DEP_3) | instskip(SKIP_1) | instid1(VALU_DEP_4)
	v_dual_add_f32 v14, v1, v14 :: v_dual_add_f32 v15, v2, v15
	v_mad_u64_u32 v[1:2], null, v3, s10, 0
	v_mul_lo_u32 v3, v12, s10
	s_waitcnt lgkmcnt(1)
	s_delay_alu instid0(VALU_DEP_3) | instskip(NEXT) | instid1(VALU_DEP_1)
	v_dual_add_f32 v4, v14, v4 :: v_dual_add_f32 v5, v15, v5
	v_dual_add_f32 v4, v4, v6 :: v_dual_add_f32 v5, v5, v7
	s_delay_alu instid0(VALU_DEP_3) | instskip(SKIP_1) | instid1(VALU_DEP_2)
	v_add3_u32 v2, v2, v13, v3
	s_waitcnt lgkmcnt(0)
	v_dual_add_f32 v3, v4, v8 :: v_dual_add_f32 v4, v5, v9
	s_delay_alu instid0(VALU_DEP_2) | instskip(NEXT) | instid1(VALU_DEP_2)
	v_lshlrev_b64 v[1:2], 3, v[1:2]
	v_dual_add_f32 v3, v3, v10 :: v_dual_add_f32 v4, v4, v11
	s_delay_alu instid0(VALU_DEP_2) | instskip(NEXT) | instid1(VALU_DEP_3)
	v_add_co_u32 v1, vcc_lo, s0, v1
	v_add_co_ci_u32_e32 v2, vcc_lo, s1, v2, vcc_lo
	ds_store_b64 v0, v[3:4]
	global_store_b64 v[1:2], v[3:4], off
.LBB22_76:
	s_nop 0
	s_sendmsg sendmsg(MSG_DEALLOC_VGPRS)
	s_endpgm
	.section	.rodata,"a",@progbits
	.p2align	6, 0x0
	.amdhsa_kernel _ZL20rocblas_tbmvx_kernelILi64ELi16EPKPK19rocblas_complex_numIfEPKPS1_Ev18rocblas_operation_bbiiT1_lllSA_T2_llli
		.amdhsa_group_segment_fixed_size 8192
		.amdhsa_private_segment_fixed_size 0
		.amdhsa_kernarg_size 352
		.amdhsa_user_sgpr_count 14
		.amdhsa_user_sgpr_dispatch_ptr 0
		.amdhsa_user_sgpr_queue_ptr 0
		.amdhsa_user_sgpr_kernarg_segment_ptr 1
		.amdhsa_user_sgpr_dispatch_id 0
		.amdhsa_user_sgpr_private_segment_size 0
		.amdhsa_wavefront_size32 1
		.amdhsa_uses_dynamic_stack 0
		.amdhsa_enable_private_segment 0
		.amdhsa_system_sgpr_workgroup_id_x 1
		.amdhsa_system_sgpr_workgroup_id_y 0
		.amdhsa_system_sgpr_workgroup_id_z 1
		.amdhsa_system_sgpr_workgroup_info 0
		.amdhsa_system_vgpr_workitem_id 1
		.amdhsa_next_free_vgpr 19
		.amdhsa_next_free_sgpr 29
		.amdhsa_reserve_vcc 1
		.amdhsa_float_round_mode_32 0
		.amdhsa_float_round_mode_16_64 0
		.amdhsa_float_denorm_mode_32 3
		.amdhsa_float_denorm_mode_16_64 3
		.amdhsa_dx10_clamp 1
		.amdhsa_ieee_mode 1
		.amdhsa_fp16_overflow 0
		.amdhsa_workgroup_processor_mode 1
		.amdhsa_memory_ordered 1
		.amdhsa_forward_progress 0
		.amdhsa_shared_vgpr_count 0
		.amdhsa_exception_fp_ieee_invalid_op 0
		.amdhsa_exception_fp_denorm_src 0
		.amdhsa_exception_fp_ieee_div_zero 0
		.amdhsa_exception_fp_ieee_overflow 0
		.amdhsa_exception_fp_ieee_underflow 0
		.amdhsa_exception_fp_ieee_inexact 0
		.amdhsa_exception_int_div_zero 0
	.end_amdhsa_kernel
	.section	.text._ZL20rocblas_tbmvx_kernelILi64ELi16EPKPK19rocblas_complex_numIfEPKPS1_Ev18rocblas_operation_bbiiT1_lllSA_T2_llli,"axG",@progbits,_ZL20rocblas_tbmvx_kernelILi64ELi16EPKPK19rocblas_complex_numIfEPKPS1_Ev18rocblas_operation_bbiiT1_lllSA_T2_llli,comdat
.Lfunc_end22:
	.size	_ZL20rocblas_tbmvx_kernelILi64ELi16EPKPK19rocblas_complex_numIfEPKPS1_Ev18rocblas_operation_bbiiT1_lllSA_T2_llli, .Lfunc_end22-_ZL20rocblas_tbmvx_kernelILi64ELi16EPKPK19rocblas_complex_numIfEPKPS1_Ev18rocblas_operation_bbiiT1_lllSA_T2_llli
                                        ; -- End function
	.section	.AMDGPU.csdata,"",@progbits
; Kernel info:
; codeLenInByte = 2412
; NumSgprs: 31
; NumVgprs: 19
; ScratchSize: 0
; MemoryBound: 0
; FloatMode: 240
; IeeeMode: 1
; LDSByteSize: 8192 bytes/workgroup (compile time only)
; SGPRBlocks: 3
; VGPRBlocks: 2
; NumSGPRsForWavesPerEU: 31
; NumVGPRsForWavesPerEU: 19
; Occupancy: 16
; WaveLimiterHint : 1
; COMPUTE_PGM_RSRC2:SCRATCH_EN: 0
; COMPUTE_PGM_RSRC2:USER_SGPR: 14
; COMPUTE_PGM_RSRC2:TRAP_HANDLER: 0
; COMPUTE_PGM_RSRC2:TGID_X_EN: 1
; COMPUTE_PGM_RSRC2:TGID_Y_EN: 0
; COMPUTE_PGM_RSRC2:TGID_Z_EN: 1
; COMPUTE_PGM_RSRC2:TIDIG_COMP_CNT: 1
	.section	.text._ZL19rocblas_copy_kernelIlLi256EPKP19rocblas_complex_numIdES4_EviT1_lT_lT2_lS6_li,"axG",@progbits,_ZL19rocblas_copy_kernelIlLi256EPKP19rocblas_complex_numIdES4_EviT1_lT_lT2_lS6_li,comdat
	.globl	_ZL19rocblas_copy_kernelIlLi256EPKP19rocblas_complex_numIdES4_EviT1_lT_lT2_lS6_li ; -- Begin function _ZL19rocblas_copy_kernelIlLi256EPKP19rocblas_complex_numIdES4_EviT1_lT_lT2_lS6_li
	.p2align	8
	.type	_ZL19rocblas_copy_kernelIlLi256EPKP19rocblas_complex_numIdES4_EviT1_lT_lT2_lS6_li,@function
_ZL19rocblas_copy_kernelIlLi256EPKP19rocblas_complex_numIdES4_EviT1_lT_lT2_lS6_li: ; @_ZL19rocblas_copy_kernelIlLi256EPKP19rocblas_complex_numIdES4_EviT1_lT_lT2_lS6_li
; %bb.0:
	s_load_b32 s4, s[0:1], 0x0
	v_lshl_or_b32 v0, s14, 8, v0
	v_mov_b32_e32 v1, 0
	s_mov_b32 s3, exec_lo
	s_waitcnt lgkmcnt(0)
	s_ashr_i32 s5, s4, 31
	s_delay_alu instid0(VALU_DEP_1) | instid1(SALU_CYCLE_1)
	v_cmpx_gt_i64_e64 s[4:5], v[0:1]
	s_cbranch_execz .LBB23_2
; %bb.1:
	s_clause 0x1
	s_load_b128 s[4:7], s[0:1], 0x28
	s_load_b64 s[8:9], s[0:1], 0x18
	s_mov_b32 s2, s15
	s_mov_b32 s3, 0
	s_load_b64 s[12:13], s[0:1], 0x38
	s_lshl_b64 s[10:11], s[2:3], 3
	s_waitcnt lgkmcnt(0)
	s_add_u32 s2, s4, s10
	s_addc_u32 s3, s5, s11
	s_lshl_b64 s[6:7], s[6:7], 4
	s_load_b64 s[4:5], s[2:3], 0x0
	s_load_b128 s[0:3], s[0:1], 0x8
	v_mad_u64_u32 v[1:2], null, v0, s8, 0
	v_mad_u64_u32 v[5:6], null, v0, s12, 0
	s_delay_alu instid0(VALU_DEP_2) | instskip(NEXT) | instid1(VALU_DEP_2)
	v_mad_u64_u32 v[3:4], null, v0, s9, v[2:3]
	v_mad_u64_u32 v[7:8], null, v0, s13, v[6:7]
	s_delay_alu instid0(VALU_DEP_2) | instskip(NEXT) | instid1(VALU_DEP_2)
	v_mov_b32_e32 v2, v3
	v_mov_b32_e32 v6, v7
	s_waitcnt lgkmcnt(0)
	s_add_u32 s4, s4, s6
	s_addc_u32 s5, s5, s7
	s_add_u32 s0, s0, s10
	s_addc_u32 s1, s1, s11
	v_lshlrev_b64 v[1:2], 4, v[1:2]
	s_load_b64 s[0:1], s[0:1], 0x0
	s_lshl_b64 s[2:3], s[2:3], 4
	v_lshlrev_b64 v[5:6], 4, v[5:6]
	s_waitcnt lgkmcnt(0)
	s_add_u32 s0, s0, s2
	s_addc_u32 s1, s1, s3
	v_add_co_u32 v1, vcc_lo, s0, v1
	v_add_co_ci_u32_e32 v2, vcc_lo, s1, v2, vcc_lo
	v_add_co_u32 v5, vcc_lo, s4, v5
	v_add_co_ci_u32_e32 v6, vcc_lo, s5, v6, vcc_lo
	global_load_b128 v[1:4], v[1:2], off
	s_waitcnt vmcnt(0)
	global_store_b128 v[5:6], v[1:4], off
.LBB23_2:
	s_nop 0
	s_sendmsg sendmsg(MSG_DEALLOC_VGPRS)
	s_endpgm
	.section	.rodata,"a",@progbits
	.p2align	6, 0x0
	.amdhsa_kernel _ZL19rocblas_copy_kernelIlLi256EPKP19rocblas_complex_numIdES4_EviT1_lT_lT2_lS6_li
		.amdhsa_group_segment_fixed_size 0
		.amdhsa_private_segment_fixed_size 0
		.amdhsa_kernarg_size 76
		.amdhsa_user_sgpr_count 14
		.amdhsa_user_sgpr_dispatch_ptr 0
		.amdhsa_user_sgpr_queue_ptr 0
		.amdhsa_user_sgpr_kernarg_segment_ptr 1
		.amdhsa_user_sgpr_dispatch_id 0
		.amdhsa_user_sgpr_private_segment_size 0
		.amdhsa_wavefront_size32 1
		.amdhsa_uses_dynamic_stack 0
		.amdhsa_enable_private_segment 0
		.amdhsa_system_sgpr_workgroup_id_x 1
		.amdhsa_system_sgpr_workgroup_id_y 0
		.amdhsa_system_sgpr_workgroup_id_z 1
		.amdhsa_system_sgpr_workgroup_info 0
		.amdhsa_system_vgpr_workitem_id 0
		.amdhsa_next_free_vgpr 9
		.amdhsa_next_free_sgpr 16
		.amdhsa_reserve_vcc 1
		.amdhsa_float_round_mode_32 0
		.amdhsa_float_round_mode_16_64 0
		.amdhsa_float_denorm_mode_32 3
		.amdhsa_float_denorm_mode_16_64 3
		.amdhsa_dx10_clamp 1
		.amdhsa_ieee_mode 1
		.amdhsa_fp16_overflow 0
		.amdhsa_workgroup_processor_mode 1
		.amdhsa_memory_ordered 1
		.amdhsa_forward_progress 0
		.amdhsa_shared_vgpr_count 0
		.amdhsa_exception_fp_ieee_invalid_op 0
		.amdhsa_exception_fp_denorm_src 0
		.amdhsa_exception_fp_ieee_div_zero 0
		.amdhsa_exception_fp_ieee_overflow 0
		.amdhsa_exception_fp_ieee_underflow 0
		.amdhsa_exception_fp_ieee_inexact 0
		.amdhsa_exception_int_div_zero 0
	.end_amdhsa_kernel
	.section	.text._ZL19rocblas_copy_kernelIlLi256EPKP19rocblas_complex_numIdES4_EviT1_lT_lT2_lS6_li,"axG",@progbits,_ZL19rocblas_copy_kernelIlLi256EPKP19rocblas_complex_numIdES4_EviT1_lT_lT2_lS6_li,comdat
.Lfunc_end23:
	.size	_ZL19rocblas_copy_kernelIlLi256EPKP19rocblas_complex_numIdES4_EviT1_lT_lT2_lS6_li, .Lfunc_end23-_ZL19rocblas_copy_kernelIlLi256EPKP19rocblas_complex_numIdES4_EviT1_lT_lT2_lS6_li
                                        ; -- End function
	.section	.AMDGPU.csdata,"",@progbits
; Kernel info:
; codeLenInByte = 284
; NumSgprs: 18
; NumVgprs: 9
; ScratchSize: 0
; MemoryBound: 0
; FloatMode: 240
; IeeeMode: 1
; LDSByteSize: 0 bytes/workgroup (compile time only)
; SGPRBlocks: 2
; VGPRBlocks: 1
; NumSGPRsForWavesPerEU: 18
; NumVGPRsForWavesPerEU: 9
; Occupancy: 16
; WaveLimiterHint : 1
; COMPUTE_PGM_RSRC2:SCRATCH_EN: 0
; COMPUTE_PGM_RSRC2:USER_SGPR: 14
; COMPUTE_PGM_RSRC2:TRAP_HANDLER: 0
; COMPUTE_PGM_RSRC2:TGID_X_EN: 1
; COMPUTE_PGM_RSRC2:TGID_Y_EN: 0
; COMPUTE_PGM_RSRC2:TGID_Z_EN: 1
; COMPUTE_PGM_RSRC2:TIDIG_COMP_CNT: 0
	.section	.text._ZL19rocblas_copy_kernelIiLi256EPKP19rocblas_complex_numIdES4_EviT1_lT_lT2_lS6_li,"axG",@progbits,_ZL19rocblas_copy_kernelIiLi256EPKP19rocblas_complex_numIdES4_EviT1_lT_lT2_lS6_li,comdat
	.globl	_ZL19rocblas_copy_kernelIiLi256EPKP19rocblas_complex_numIdES4_EviT1_lT_lT2_lS6_li ; -- Begin function _ZL19rocblas_copy_kernelIiLi256EPKP19rocblas_complex_numIdES4_EviT1_lT_lT2_lS6_li
	.p2align	8
	.type	_ZL19rocblas_copy_kernelIiLi256EPKP19rocblas_complex_numIdES4_EviT1_lT_lT2_lS6_li,@function
_ZL19rocblas_copy_kernelIiLi256EPKP19rocblas_complex_numIdES4_EviT1_lT_lT2_lS6_li: ; @_ZL19rocblas_copy_kernelIiLi256EPKP19rocblas_complex_numIdES4_EviT1_lT_lT2_lS6_li
; %bb.0:
	s_load_b32 s4, s[0:1], 0x0
	v_lshl_or_b32 v0, s14, 8, v0
	v_mov_b32_e32 v1, 0
	s_mov_b32 s3, exec_lo
	s_waitcnt lgkmcnt(0)
	s_ashr_i32 s5, s4, 31
	s_delay_alu instid0(VALU_DEP_1) | instid1(SALU_CYCLE_1)
	v_cmpx_gt_i64_e64 s[4:5], v[0:1]
	s_cbranch_execz .LBB24_2
; %bb.1:
	s_clause 0x2
	s_load_b32 s10, s[0:1], 0x18
	s_load_b32 s11, s[0:1], 0x38
	s_load_b128 s[4:7], s[0:1], 0x28
	s_mov_b32 s2, s15
	s_mov_b32 s3, 0
	s_delay_alu instid0(SALU_CYCLE_1)
	s_lshl_b64 s[8:9], s[2:3], 3
	s_waitcnt lgkmcnt(0)
	s_ashr_i32 s12, s10, 31
	s_ashr_i32 s13, s11, 31
	s_add_u32 s2, s4, s8
	s_addc_u32 s3, s5, s9
	s_lshl_b64 s[6:7], s[6:7], 4
	s_load_b64 s[4:5], s[2:3], 0x0
	s_load_b128 s[0:3], s[0:1], 0x8
	v_mad_u64_u32 v[1:2], null, s10, v0, 0
	v_mad_u64_u32 v[5:6], null, s11, v0, 0
	s_delay_alu instid0(VALU_DEP_2) | instskip(NEXT) | instid1(VALU_DEP_2)
	v_mad_u64_u32 v[3:4], null, s12, v0, v[2:3]
	v_mad_u64_u32 v[7:8], null, s13, v0, v[6:7]
	s_delay_alu instid0(VALU_DEP_2) | instskip(NEXT) | instid1(VALU_DEP_2)
	v_mov_b32_e32 v2, v3
	v_mov_b32_e32 v6, v7
	s_waitcnt lgkmcnt(0)
	s_add_u32 s4, s4, s6
	s_addc_u32 s5, s5, s7
	s_add_u32 s0, s0, s8
	s_addc_u32 s1, s1, s9
	v_lshlrev_b64 v[1:2], 4, v[1:2]
	s_load_b64 s[0:1], s[0:1], 0x0
	s_lshl_b64 s[2:3], s[2:3], 4
	v_lshlrev_b64 v[5:6], 4, v[5:6]
	s_waitcnt lgkmcnt(0)
	s_add_u32 s0, s0, s2
	s_addc_u32 s1, s1, s3
	v_add_co_u32 v1, vcc_lo, s0, v1
	v_add_co_ci_u32_e32 v2, vcc_lo, s1, v2, vcc_lo
	v_add_co_u32 v5, vcc_lo, s4, v5
	v_add_co_ci_u32_e32 v6, vcc_lo, s5, v6, vcc_lo
	global_load_b128 v[1:4], v[1:2], off
	s_waitcnt vmcnt(0)
	global_store_b128 v[5:6], v[1:4], off
.LBB24_2:
	s_nop 0
	s_sendmsg sendmsg(MSG_DEALLOC_VGPRS)
	s_endpgm
	.section	.rodata,"a",@progbits
	.p2align	6, 0x0
	.amdhsa_kernel _ZL19rocblas_copy_kernelIiLi256EPKP19rocblas_complex_numIdES4_EviT1_lT_lT2_lS6_li
		.amdhsa_group_segment_fixed_size 0
		.amdhsa_private_segment_fixed_size 0
		.amdhsa_kernarg_size 76
		.amdhsa_user_sgpr_count 14
		.amdhsa_user_sgpr_dispatch_ptr 0
		.amdhsa_user_sgpr_queue_ptr 0
		.amdhsa_user_sgpr_kernarg_segment_ptr 1
		.amdhsa_user_sgpr_dispatch_id 0
		.amdhsa_user_sgpr_private_segment_size 0
		.amdhsa_wavefront_size32 1
		.amdhsa_uses_dynamic_stack 0
		.amdhsa_enable_private_segment 0
		.amdhsa_system_sgpr_workgroup_id_x 1
		.amdhsa_system_sgpr_workgroup_id_y 0
		.amdhsa_system_sgpr_workgroup_id_z 1
		.amdhsa_system_sgpr_workgroup_info 0
		.amdhsa_system_vgpr_workitem_id 0
		.amdhsa_next_free_vgpr 9
		.amdhsa_next_free_sgpr 16
		.amdhsa_reserve_vcc 1
		.amdhsa_float_round_mode_32 0
		.amdhsa_float_round_mode_16_64 0
		.amdhsa_float_denorm_mode_32 3
		.amdhsa_float_denorm_mode_16_64 3
		.amdhsa_dx10_clamp 1
		.amdhsa_ieee_mode 1
		.amdhsa_fp16_overflow 0
		.amdhsa_workgroup_processor_mode 1
		.amdhsa_memory_ordered 1
		.amdhsa_forward_progress 0
		.amdhsa_shared_vgpr_count 0
		.amdhsa_exception_fp_ieee_invalid_op 0
		.amdhsa_exception_fp_denorm_src 0
		.amdhsa_exception_fp_ieee_div_zero 0
		.amdhsa_exception_fp_ieee_overflow 0
		.amdhsa_exception_fp_ieee_underflow 0
		.amdhsa_exception_fp_ieee_inexact 0
		.amdhsa_exception_int_div_zero 0
	.end_amdhsa_kernel
	.section	.text._ZL19rocblas_copy_kernelIiLi256EPKP19rocblas_complex_numIdES4_EviT1_lT_lT2_lS6_li,"axG",@progbits,_ZL19rocblas_copy_kernelIiLi256EPKP19rocblas_complex_numIdES4_EviT1_lT_lT2_lS6_li,comdat
.Lfunc_end24:
	.size	_ZL19rocblas_copy_kernelIiLi256EPKP19rocblas_complex_numIdES4_EviT1_lT_lT2_lS6_li, .Lfunc_end24-_ZL19rocblas_copy_kernelIiLi256EPKP19rocblas_complex_numIdES4_EviT1_lT_lT2_lS6_li
                                        ; -- End function
	.section	.AMDGPU.csdata,"",@progbits
; Kernel info:
; codeLenInByte = 296
; NumSgprs: 18
; NumVgprs: 9
; ScratchSize: 0
; MemoryBound: 0
; FloatMode: 240
; IeeeMode: 1
; LDSByteSize: 0 bytes/workgroup (compile time only)
; SGPRBlocks: 2
; VGPRBlocks: 1
; NumSGPRsForWavesPerEU: 18
; NumVGPRsForWavesPerEU: 9
; Occupancy: 16
; WaveLimiterHint : 1
; COMPUTE_PGM_RSRC2:SCRATCH_EN: 0
; COMPUTE_PGM_RSRC2:USER_SGPR: 14
; COMPUTE_PGM_RSRC2:TRAP_HANDLER: 0
; COMPUTE_PGM_RSRC2:TGID_X_EN: 1
; COMPUTE_PGM_RSRC2:TGID_Y_EN: 0
; COMPUTE_PGM_RSRC2:TGID_Z_EN: 1
; COMPUTE_PGM_RSRC2:TIDIG_COMP_CNT: 0
	.section	.text._ZL20rocblas_tbmvx_kernelILi64ELi16EPKPK19rocblas_complex_numIdEPKPS1_Ev18rocblas_operation_bbiiT1_lllSA_T2_llli,"axG",@progbits,_ZL20rocblas_tbmvx_kernelILi64ELi16EPKPK19rocblas_complex_numIdEPKPS1_Ev18rocblas_operation_bbiiT1_lllSA_T2_llli,comdat
	.globl	_ZL20rocblas_tbmvx_kernelILi64ELi16EPKPK19rocblas_complex_numIdEPKPS1_Ev18rocblas_operation_bbiiT1_lllSA_T2_llli ; -- Begin function _ZL20rocblas_tbmvx_kernelILi64ELi16EPKPK19rocblas_complex_numIdEPKPS1_Ev18rocblas_operation_bbiiT1_lllSA_T2_llli
	.p2align	8
	.type	_ZL20rocblas_tbmvx_kernelILi64ELi16EPKPK19rocblas_complex_numIdEPKPS1_Ev18rocblas_operation_bbiiT1_lllSA_T2_llli,@function
_ZL20rocblas_tbmvx_kernelILi64ELi16EPKPK19rocblas_complex_numIdEPKPS1_Ev18rocblas_operation_bbiiT1_lllSA_T2_llli: ; @_ZL20rocblas_tbmvx_kernelILi64ELi16EPKPK19rocblas_complex_numIdEPKPS1_Ev18rocblas_operation_bbiiT1_lllSA_T2_llli
; %bb.0:
	s_load_b64 s[2:3], s[0:1], 0x6c
	s_waitcnt lgkmcnt(0)
	s_lshr_b32 s4, s2, 16
	s_and_b32 s26, s2, 0xffff
	s_and_b32 s2, s3, 0xffff
	s_mul_i32 s3, s4, s26
	s_delay_alu instid0(SALU_CYCLE_1) | instskip(NEXT) | instid1(SALU_CYCLE_1)
	s_mul_i32 s3, s3, s2
	s_cmpk_lg_i32 s3, 0x400
	s_cbranch_scc1 .LBB25_60
; %bb.1:
	s_clause 0x3
	s_load_b64 s[2:3], s[0:1], 0x0
	s_load_b128 s[16:19], s[0:1], 0x4
	s_load_b128 s[20:23], s[0:1], 0x10
	s_load_b256 s[4:11], s[0:1], 0x30
	s_mov_b32 s24, s15
	s_mov_b32 s25, 0
	s_load_b64 s[12:13], s[0:1], 0x20
	v_and_b32_e32 v1, 0x3ff, v0
	v_bfe_u32 v0, v0, 10, 10
	s_delay_alu instid0(VALU_DEP_1) | instskip(NEXT) | instid1(VALU_DEP_1)
	v_mad_u32_u24 v17, v0, s26, v1
	v_and_b32_e32 v18, 63, v17
	v_lshrrev_b32_e32 v4, 6, v17
	s_waitcnt lgkmcnt(0)
	s_bitcmp1_b32 s3, 0
	s_cselect_b32 s3, -1, 0
	s_bitcmp1_b32 s16, 8
	s_cselect_b32 s15, -1, 0
	s_lshl_b64 s[0:1], s[24:25], 3
	s_delay_alu instid0(SALU_CYCLE_1)
	s_add_u32 s20, s20, s0
	s_addc_u32 s21, s21, s1
	s_add_u32 s4, s4, s0
	s_addc_u32 s5, s5, s1
	;; [unrolled: 2-line block ×3, first 2 shown]
	s_load_b64 s[20:21], s[20:21], 0x0
	s_load_b64 s[6:7], s[4:5], 0x0
	;; [unrolled: 1-line block ×3, first 2 shown]
	s_lshl_b32 s14, s14, 6
	s_cmpk_lg_i32 s2, 0x6f
	v_or_b32_e32 v6, s14, v18
	s_mov_b32 s0, -1
	s_cbranch_scc0 .LBB25_4
; %bb.2:
	v_dual_mov_b32 v5, 0 :: v_dual_mov_b32 v0, 0
	v_mov_b32_e32 v1, 0
	v_cmp_ge_i32_e64 s0, s18, v4
	s_delay_alu instid0(VALU_DEP_3) | instskip(NEXT) | instid1(VALU_DEP_3)
	v_cmp_gt_i64_e32 vcc_lo, s[12:13], v[4:5]
	v_dual_mov_b32 v3, v1 :: v_dual_mov_b32 v2, v0
	s_delay_alu instid0(VALU_DEP_3) | instskip(NEXT) | instid1(SALU_CYCLE_1)
	s_and_b32 s0, s0, vcc_lo
	s_and_saveexec_b32 s16, s0
	s_cbranch_execz .LBB25_32
; %bb.3:
	v_ashrrev_i32_e32 v7, 31, v6
	v_mul_lo_u32 v2, v6, s13
	v_mad_u64_u32 v[0:1], null, v6, s12, 0
	s_xor_b32 s19, s3, -1
	s_delay_alu instid0(VALU_DEP_3)
	v_mul_lo_u32 v3, v7, s12
	s_xor_b32 s24, s15, -1
	s_cmpk_eq_i32 s2, 0x71
	v_lshlrev_b64 v[9:10], 4, v[6:7]
	s_cselect_b32 s1, -1, 0
	s_lshl_b64 s[26:27], s[22:23], 4
	v_cmp_gt_i32_e64 s0, s17, v6
	s_waitcnt lgkmcnt(0)
	s_add_u32 s2, s20, s26
	v_add3_u32 v1, v1, v2, v3
	v_mov_b32_e32 v2, 0
	v_dual_mov_b32 v3, 0 :: v_dual_mov_b32 v12, v5
	s_addc_u32 s25, s21, s27
	s_delay_alu instid0(VALU_DEP_3) | instskip(SKIP_3) | instid1(VALU_DEP_4)
	v_lshlrev_b64 v[0:1], 4, v[0:1]
	v_xad_u32 v19, v6, -1, s17
	v_sub_nc_u32_e32 v20, s18, v6
	v_mov_b32_e32 v11, v4
	v_add_co_u32 v7, vcc_lo, s2, v0
	v_add_co_ci_u32_e32 v8, vcc_lo, s25, v1, vcc_lo
	v_add_co_u32 v9, vcc_lo, s6, v9
	v_add_co_ci_u32_e32 v10, vcc_lo, s7, v10, vcc_lo
	v_dual_mov_b32 v0, v2 :: v_dual_mov_b32 v1, v3
	s_mov_b32 s25, 0
	s_branch .LBB25_10
.LBB25_4:
                                        ; implicit-def: $vgpr0_vgpr1
	s_and_not1_b32 vcc_lo, exec_lo, s0
	s_cbranch_vccz .LBB25_33
	s_branch .LBB25_58
.LBB25_5:                               ;   in Loop: Header=BB25_10 Depth=1
	s_delay_alu instid0(VALU_DEP_1) | instskip(NEXT) | instid1(VALU_DEP_3)
	v_dual_mov_b32 v2, v14 :: v_dual_mov_b32 v3, v15
	v_dual_mov_b32 v0, v12 :: v_dual_mov_b32 v1, v13
.LBB25_6:                               ;   in Loop: Header=BB25_10 Depth=1
	s_or_b32 exec_lo, exec_lo, s27
.LBB25_7:                               ;   in Loop: Header=BB25_10 Depth=1
	s_delay_alu instid0(SALU_CYCLE_1) | instskip(NEXT) | instid1(VALU_DEP_1)
	s_or_b32 exec_lo, exec_lo, s2
	v_dual_mov_b32 v14, v3 :: v_dual_mov_b32 v13, v2
	s_delay_alu instid0(VALU_DEP_2)
	v_dual_mov_b32 v16, v1 :: v_dual_mov_b32 v15, v0
.LBB25_8:                               ;   in Loop: Header=BB25_10 Depth=1
	s_delay_alu instid0(VALU_DEP_1) | instskip(NEXT) | instid1(VALU_DEP_2)
	v_dual_mov_b32 v0, v15 :: v_dual_mov_b32 v1, v16
	v_dual_mov_b32 v2, v13 :: v_dual_mov_b32 v3, v14
.LBB25_9:                               ;   in Loop: Header=BB25_10 Depth=1
	s_or_b32 exec_lo, exec_lo, s26
	v_add_nc_u32_e32 v11, 16, v11
	s_delay_alu instid0(VALU_DEP_1) | instskip(SKIP_1) | instid1(VALU_DEP_2)
	v_ashrrev_i32_e32 v12, 31, v11
	v_cmp_lt_i32_e64 s2, s18, v11
	v_cmp_le_i64_e32 vcc_lo, s[12:13], v[11:12]
	s_delay_alu instid0(VALU_DEP_2) | instskip(NEXT) | instid1(SALU_CYCLE_1)
	s_or_b32 s2, s2, vcc_lo
	s_and_b32 s2, exec_lo, s2
	s_delay_alu instid0(SALU_CYCLE_1) | instskip(NEXT) | instid1(SALU_CYCLE_1)
	s_or_b32 s25, s2, s25
	s_and_not1_b32 exec_lo, exec_lo, s25
	s_cbranch_execz .LBB25_31
.LBB25_10:                              ; =>This Inner Loop Header: Depth=1
	s_and_saveexec_b32 s26, s0
	s_cbranch_execz .LBB25_9
; %bb.11:                               ;   in Loop: Header=BB25_10 Depth=1
	s_and_b32 vcc_lo, exec_lo, s19
	s_cbranch_vccz .LBB25_16
; %bb.12:                               ;   in Loop: Header=BB25_10 Depth=1
	v_cmp_gt_i64_e32 vcc_lo, 1, v[11:12]
	v_cmp_lt_i32_e64 s2, v19, v11
                                        ; implicit-def: $vgpr13_vgpr14
                                        ; implicit-def: $vgpr15_vgpr16
	s_delay_alu instid0(VALU_DEP_1) | instskip(NEXT) | instid1(SALU_CYCLE_1)
	s_or_b32 s2, vcc_lo, s2
	s_and_saveexec_b32 s27, s2
	s_delay_alu instid0(SALU_CYCLE_1)
	s_xor_b32 s2, exec_lo, s27
	s_cbranch_execz .LBB25_20
; %bb.13:                               ;   in Loop: Header=BB25_10 Depth=1
	v_dual_mov_b32 v14, v3 :: v_dual_mov_b32 v13, v2
	v_dual_mov_b32 v16, v1 :: v_dual_mov_b32 v15, v0
	s_mov_b32 s27, exec_lo
	v_cmpx_eq_u64_e32 0, v[11:12]
	s_cbranch_execz .LBB25_19
; %bb.14:                               ;   in Loop: Header=BB25_10 Depth=1
	s_and_b32 vcc_lo, exec_lo, s24
	s_cbranch_vccz .LBB25_17
; %bb.15:                               ;   in Loop: Header=BB25_10 Depth=1
	global_load_b128 v[13:16], v[7:8], off
	global_load_b128 v[21:24], v[9:10], off
	s_waitcnt vmcnt(1)
	v_xor_b32_e32 v5, 0x80000000, v16
	s_delay_alu instid0(VALU_DEP_1) | instskip(SKIP_1) | instid1(VALU_DEP_1)
	v_cndmask_b32_e64 v16, v16, v5, s1
	s_waitcnt vmcnt(0)
	v_mul_f64 v[25:26], v[15:16], v[23:24]
	v_mul_f64 v[23:24], v[13:14], v[23:24]
	s_delay_alu instid0(VALU_DEP_2) | instskip(NEXT) | instid1(VALU_DEP_2)
	v_fma_f64 v[13:14], v[13:14], v[21:22], -v[25:26]
	v_fma_f64 v[21:22], v[15:16], v[21:22], v[23:24]
	s_delay_alu instid0(VALU_DEP_2) | instskip(NEXT) | instid1(VALU_DEP_2)
	v_add_f64 v[15:16], v[0:1], v[13:14]
	v_add_f64 v[13:14], v[2:3], v[21:22]
	s_cbranch_execz .LBB25_18
	s_branch .LBB25_19
.LBB25_16:                              ;   in Loop: Header=BB25_10 Depth=1
                                        ; implicit-def: $vgpr13_vgpr14
                                        ; implicit-def: $vgpr15_vgpr16
	s_branch .LBB25_23
.LBB25_17:                              ;   in Loop: Header=BB25_10 Depth=1
                                        ; implicit-def: $vgpr13_vgpr14
                                        ; implicit-def: $vgpr15_vgpr16
.LBB25_18:                              ;   in Loop: Header=BB25_10 Depth=1
	global_load_b128 v[21:24], v[9:10], off
	s_waitcnt vmcnt(0)
	v_add_f64 v[15:16], v[0:1], v[21:22]
	v_add_f64 v[13:14], v[2:3], v[23:24]
.LBB25_19:                              ;   in Loop: Header=BB25_10 Depth=1
	s_or_b32 exec_lo, exec_lo, s27
.LBB25_20:                              ;   in Loop: Header=BB25_10 Depth=1
	s_and_not1_saveexec_b32 s2, s2
	s_cbranch_execz .LBB25_22
; %bb.21:                               ;   in Loop: Header=BB25_10 Depth=1
	v_add_nc_u32_e32 v13, v6, v11
	v_lshlrev_b64 v[15:16], 4, v[11:12]
	s_delay_alu instid0(VALU_DEP_2) | instskip(NEXT) | instid1(VALU_DEP_2)
	v_ashrrev_i32_e32 v14, 31, v13
	v_add_co_u32 v15, vcc_lo, v7, v15
	s_delay_alu instid0(VALU_DEP_3) | instskip(NEXT) | instid1(VALU_DEP_3)
	v_add_co_ci_u32_e32 v16, vcc_lo, v8, v16, vcc_lo
	v_lshlrev_b64 v[21:22], 4, v[13:14]
	global_load_b128 v[13:16], v[15:16], off
	v_add_co_u32 v21, vcc_lo, s6, v21
	v_add_co_ci_u32_e32 v22, vcc_lo, s7, v22, vcc_lo
	global_load_b128 v[21:24], v[21:22], off
	s_waitcnt vmcnt(1)
	v_xor_b32_e32 v5, 0x80000000, v16
	s_delay_alu instid0(VALU_DEP_1) | instskip(SKIP_1) | instid1(VALU_DEP_1)
	v_cndmask_b32_e64 v16, v16, v5, s1
	s_waitcnt vmcnt(0)
	v_mul_f64 v[25:26], v[15:16], v[23:24]
	v_mul_f64 v[23:24], v[13:14], v[23:24]
	s_delay_alu instid0(VALU_DEP_2) | instskip(NEXT) | instid1(VALU_DEP_2)
	v_fma_f64 v[13:14], v[13:14], v[21:22], -v[25:26]
	v_fma_f64 v[21:22], v[15:16], v[21:22], v[23:24]
	s_delay_alu instid0(VALU_DEP_2) | instskip(NEXT) | instid1(VALU_DEP_2)
	v_add_f64 v[15:16], v[0:1], v[13:14]
	v_add_f64 v[13:14], v[2:3], v[21:22]
.LBB25_22:                              ;   in Loop: Header=BB25_10 Depth=1
	s_or_b32 exec_lo, exec_lo, s2
	s_cbranch_execnz .LBB25_8
.LBB25_23:                              ;   in Loop: Header=BB25_10 Depth=1
	v_cmp_gt_i32_e32 vcc_lo, s18, v11
	v_cmp_ge_i32_e64 s2, v11, v20
	s_delay_alu instid0(VALU_DEP_1) | instskip(NEXT) | instid1(SALU_CYCLE_1)
	s_and_b32 s2, vcc_lo, s2
	s_and_saveexec_b32 s27, s2
	s_delay_alu instid0(SALU_CYCLE_1)
	s_xor_b32 s2, exec_lo, s27
	s_cbranch_execz .LBB25_25
; %bb.24:                               ;   in Loop: Header=BB25_10 Depth=1
	v_sub_nc_u32_e32 v13, v11, v20
	v_lshlrev_b64 v[15:16], 4, v[11:12]
	s_delay_alu instid0(VALU_DEP_2) | instskip(NEXT) | instid1(VALU_DEP_2)
	v_ashrrev_i32_e32 v14, 31, v13
	v_add_co_u32 v15, vcc_lo, v7, v15
	s_delay_alu instid0(VALU_DEP_3) | instskip(NEXT) | instid1(VALU_DEP_3)
	v_add_co_ci_u32_e32 v16, vcc_lo, v8, v16, vcc_lo
	v_lshlrev_b64 v[21:22], 4, v[13:14]
	global_load_b128 v[13:16], v[15:16], off
	v_add_co_u32 v21, vcc_lo, s6, v21
	v_add_co_ci_u32_e32 v22, vcc_lo, s7, v22, vcc_lo
	global_load_b128 v[21:24], v[21:22], off
	s_waitcnt vmcnt(1)
	v_xor_b32_e32 v5, 0x80000000, v16
	s_delay_alu instid0(VALU_DEP_1) | instskip(SKIP_1) | instid1(VALU_DEP_1)
	v_cndmask_b32_e64 v16, v16, v5, s1
	s_waitcnt vmcnt(0)
	v_mul_f64 v[25:26], v[15:16], v[23:24]
	v_mul_f64 v[23:24], v[13:14], v[23:24]
	s_delay_alu instid0(VALU_DEP_2) | instskip(NEXT) | instid1(VALU_DEP_2)
	v_fma_f64 v[13:14], v[13:14], v[21:22], -v[25:26]
	v_fma_f64 v[15:16], v[15:16], v[21:22], v[23:24]
	s_delay_alu instid0(VALU_DEP_2) | instskip(NEXT) | instid1(VALU_DEP_2)
	v_add_f64 v[0:1], v[0:1], v[13:14]
	v_add_f64 v[2:3], v[2:3], v[15:16]
.LBB25_25:                              ;   in Loop: Header=BB25_10 Depth=1
	s_and_not1_saveexec_b32 s2, s2
	s_cbranch_execz .LBB25_7
; %bb.26:                               ;   in Loop: Header=BB25_10 Depth=1
	s_mov_b32 s27, exec_lo
	v_cmpx_eq_u32_e64 s18, v11
	s_cbranch_execz .LBB25_6
; %bb.27:                               ;   in Loop: Header=BB25_10 Depth=1
	s_and_b32 vcc_lo, exec_lo, s24
	s_cbranch_vccz .LBB25_29
; %bb.28:                               ;   in Loop: Header=BB25_10 Depth=1
	v_lshlrev_b64 v[12:13], 4, v[11:12]
	s_delay_alu instid0(VALU_DEP_1) | instskip(NEXT) | instid1(VALU_DEP_2)
	v_add_co_u32 v12, vcc_lo, v7, v12
	v_add_co_ci_u32_e32 v13, vcc_lo, v8, v13, vcc_lo
	global_load_b128 v[12:15], v[12:13], off
	global_load_b128 v[21:24], v[9:10], off
	s_waitcnt vmcnt(1)
	v_xor_b32_e32 v5, 0x80000000, v15
	s_delay_alu instid0(VALU_DEP_1) | instskip(SKIP_1) | instid1(VALU_DEP_1)
	v_cndmask_b32_e64 v15, v15, v5, s1
	s_waitcnt vmcnt(0)
	v_mul_f64 v[25:26], v[14:15], v[23:24]
	v_mul_f64 v[23:24], v[12:13], v[23:24]
	s_delay_alu instid0(VALU_DEP_2) | instskip(NEXT) | instid1(VALU_DEP_2)
	v_fma_f64 v[12:13], v[12:13], v[21:22], -v[25:26]
	v_fma_f64 v[14:15], v[14:15], v[21:22], v[23:24]
	s_delay_alu instid0(VALU_DEP_2) | instskip(NEXT) | instid1(VALU_DEP_2)
	v_add_f64 v[12:13], v[0:1], v[12:13]
	v_add_f64 v[14:15], v[2:3], v[14:15]
	s_cbranch_execnz .LBB25_5
	s_branch .LBB25_30
.LBB25_29:                              ;   in Loop: Header=BB25_10 Depth=1
                                        ; implicit-def: $vgpr14_vgpr15
                                        ; implicit-def: $vgpr12_vgpr13
.LBB25_30:                              ;   in Loop: Header=BB25_10 Depth=1
	global_load_b128 v[12:15], v[9:10], off
	s_waitcnt vmcnt(0)
	v_add_f64 v[12:13], v[0:1], v[12:13]
	v_add_f64 v[14:15], v[2:3], v[14:15]
	s_branch .LBB25_5
.LBB25_31:
	s_or_b32 exec_lo, exec_lo, s25
.LBB25_32:
	s_delay_alu instid0(SALU_CYCLE_1)
	s_or_b32 exec_lo, exec_lo, s16
	s_cbranch_execnz .LBB25_58
.LBB25_33:
	v_mov_b32_e32 v0, 0
	v_mov_b32_e32 v1, 0
	s_mov_b32 s16, exec_lo
	s_delay_alu instid0(VALU_DEP_1)
	v_dual_mov_b32 v3, v1 :: v_dual_mov_b32 v2, v0
	v_cmpx_gt_i32_e64 s17, v4
	s_cbranch_execz .LBB25_57
; %bb.34:
	v_mad_u64_u32 v[0:1], null, s12, v4, 0
	s_and_b32 s0, s3, exec_lo
	s_cselect_b32 s1, s18, 0
	s_and_b32 s2, s3, s15
	v_lshlrev_b32_e32 v5, 4, v4
	s_xor_b32 s24, s15, -1
	s_xor_b32 s15, s2, -1
	s_delay_alu instid0(VALU_DEP_2)
	v_mad_u64_u32 v[2:3], null, s13, v4, v[1:2]
	s_cmp_lg_u32 s18, 0
	v_add3_u32 v3, s1, s14, v18
	s_cselect_b32 s1, -1, 0
	v_cmp_gt_i32_e64 s0, s17, v6
	v_mov_b32_e32 v6, 0
	s_waitcnt lgkmcnt(0)
	v_add_co_u32 v7, s2, v5, s6
	v_mov_b32_e32 v1, v2
	s_and_b32 s1, s1, s3
	v_add_co_ci_u32_e64 v8, null, 0, s7, s2
	v_sub_nc_u32_e32 v5, v3, v4
	v_mov_b32_e32 v2, 0
	v_lshlrev_b64 v[0:1], 4, v[0:1]
	s_or_b32 s1, s1, s24
	s_lshl_b64 s[2:3], s[22:23], 4
	s_ashr_i32 s19, s18, 31
	s_xor_b32 s24, s1, -1
	v_add_co_u32 v7, vcc_lo, v7, 8
	s_add_u32 s1, s20, s2
	v_add_co_ci_u32_e32 v8, vcc_lo, 0, v8, vcc_lo
	s_addc_u32 s2, s21, s3
	v_add_co_u32 v0, vcc_lo, s1, v0
	v_add_co_ci_u32_e32 v1, vcc_lo, s2, v1, vcc_lo
	v_mov_b32_e32 v3, 0
	s_delay_alu instid0(VALU_DEP_3) | instskip(NEXT) | instid1(VALU_DEP_3)
	v_add_co_u32 v9, vcc_lo, v0, 8
	v_add_co_ci_u32_e32 v10, vcc_lo, 0, v1, vcc_lo
	s_delay_alu instid0(VALU_DEP_3)
	v_dual_mov_b32 v0, v2 :: v_dual_mov_b32 v1, v3
	s_mov_b32 s20, 0
	s_lshl_b64 s[2:3], s[12:13], 8
	s_lshl_b64 s[6:7], s[18:19], 4
	s_branch .LBB25_37
.LBB25_35:                              ;   in Loop: Header=BB25_37 Depth=1
	s_or_b32 exec_lo, exec_lo, s1
.LBB25_36:                              ;   in Loop: Header=BB25_37 Depth=1
	s_delay_alu instid0(SALU_CYCLE_1) | instskip(SKIP_3) | instid1(VALU_DEP_3)
	s_or_b32 exec_lo, exec_lo, s12
	v_add_nc_u32_e32 v4, 16, v4
	v_add_co_u32 v7, vcc_lo, 0x100, v7
	v_add_co_ci_u32_e32 v8, vcc_lo, 0, v8, vcc_lo
	v_cmp_le_i32_e32 vcc_lo, s17, v4
	v_add_co_u32 v9, s1, v9, s2
	v_add_nc_u32_e32 v5, -16, v5
	v_add_co_ci_u32_e64 v10, s1, s3, v10, s1
	s_or_b32 s20, vcc_lo, s20
	s_delay_alu instid0(SALU_CYCLE_1)
	s_and_not1_b32 exec_lo, exec_lo, s20
	s_cbranch_execz .LBB25_56
.LBB25_37:                              ; =>This Inner Loop Header: Depth=1
	s_and_saveexec_b32 s12, s0
	s_cbranch_execz .LBB25_36
; %bb.38:                               ;   in Loop: Header=BB25_37 Depth=1
	v_cmp_le_i32_e32 vcc_lo, s18, v5
	v_cmp_gt_i32_e64 s1, 1, v5
	s_delay_alu instid0(VALU_DEP_1) | instskip(NEXT) | instid1(SALU_CYCLE_1)
	s_or_b32 s1, vcc_lo, s1
	s_and_saveexec_b32 s13, s1
	s_delay_alu instid0(SALU_CYCLE_1)
	s_xor_b32 s1, exec_lo, s13
	s_cbranch_execz .LBB25_52
; %bb.39:                               ;   in Loop: Header=BB25_37 Depth=1
	s_mov_b32 s13, exec_lo
	v_cmpx_ne_u32_e32 0, v5
	s_xor_b32 s13, exec_lo, s13
	s_cbranch_execz .LBB25_46
; %bb.40:                               ;   in Loop: Header=BB25_37 Depth=1
	s_mov_b32 s19, exec_lo
	v_cmpx_eq_u32_e64 s18, v5
	s_cbranch_execz .LBB25_45
; %bb.41:                               ;   in Loop: Header=BB25_37 Depth=1
	s_and_b32 vcc_lo, exec_lo, s15
	s_cbranch_vccz .LBB25_55
; %bb.42:                               ;   in Loop: Header=BB25_37 Depth=1
	v_add_co_u32 v15, vcc_lo, v9, s6
	v_add_co_ci_u32_e32 v16, vcc_lo, s7, v10, vcc_lo
	global_load_b128 v[11:14], v[7:8], off offset:-8
	global_load_b128 v[18:21], v[15:16], off offset:-8
	s_waitcnt vmcnt(0)
	v_mul_f64 v[15:16], v[13:14], v[20:21]
	v_mul_f64 v[20:21], v[11:12], v[20:21]
	s_delay_alu instid0(VALU_DEP_2) | instskip(NEXT) | instid1(VALU_DEP_2)
	v_fma_f64 v[11:12], v[11:12], v[18:19], -v[15:16]
	v_fma_f64 v[13:14], v[13:14], v[18:19], v[20:21]
	s_delay_alu instid0(VALU_DEP_2) | instskip(NEXT) | instid1(VALU_DEP_2)
	v_add_f64 v[11:12], v[0:1], v[11:12]
	v_add_f64 v[13:14], v[2:3], v[13:14]
	s_cbranch_execnz .LBB25_44
.LBB25_43:                              ;   in Loop: Header=BB25_37 Depth=1
	global_load_b128 v[11:14], v[7:8], off offset:-8
	s_waitcnt vmcnt(0)
	v_add_f64 v[11:12], v[0:1], v[11:12]
	v_add_f64 v[13:14], v[2:3], v[13:14]
.LBB25_44:                              ;   in Loop: Header=BB25_37 Depth=1
	s_delay_alu instid0(VALU_DEP_1) | instskip(NEXT) | instid1(VALU_DEP_3)
	v_dual_mov_b32 v2, v13 :: v_dual_mov_b32 v3, v14
	v_dual_mov_b32 v0, v11 :: v_dual_mov_b32 v1, v12
.LBB25_45:                              ;   in Loop: Header=BB25_37 Depth=1
	s_or_b32 exec_lo, exec_lo, s19
.LBB25_46:                              ;   in Loop: Header=BB25_37 Depth=1
	s_and_not1_saveexec_b32 s13, s13
	s_cbranch_execz .LBB25_51
; %bb.47:                               ;   in Loop: Header=BB25_37 Depth=1
	s_and_not1_b32 vcc_lo, exec_lo, s24
	s_cbranch_vccnz .LBB25_54
; %bb.48:                               ;   in Loop: Header=BB25_37 Depth=1
	global_load_b128 v[11:14], v[7:8], off offset:-8
	s_waitcnt vmcnt(0)
	v_add_f64 v[11:12], v[0:1], v[11:12]
	v_add_f64 v[13:14], v[2:3], v[13:14]
	s_cbranch_execnz .LBB25_50
.LBB25_49:                              ;   in Loop: Header=BB25_37 Depth=1
	global_load_b128 v[11:14], v[7:8], off offset:-8
	global_load_b128 v[18:21], v[9:10], off offset:-8
	s_waitcnt vmcnt(0)
	v_mul_f64 v[15:16], v[13:14], v[20:21]
	v_mul_f64 v[20:21], v[11:12], v[20:21]
	s_delay_alu instid0(VALU_DEP_2) | instskip(NEXT) | instid1(VALU_DEP_2)
	v_fma_f64 v[11:12], v[11:12], v[18:19], -v[15:16]
	v_fma_f64 v[13:14], v[13:14], v[18:19], v[20:21]
	s_delay_alu instid0(VALU_DEP_2) | instskip(NEXT) | instid1(VALU_DEP_2)
	v_add_f64 v[11:12], v[0:1], v[11:12]
	v_add_f64 v[13:14], v[2:3], v[13:14]
.LBB25_50:                              ;   in Loop: Header=BB25_37 Depth=1
	s_delay_alu instid0(VALU_DEP_1) | instskip(NEXT) | instid1(VALU_DEP_3)
	v_dual_mov_b32 v2, v13 :: v_dual_mov_b32 v3, v14
	v_dual_mov_b32 v0, v11 :: v_dual_mov_b32 v1, v12
.LBB25_51:                              ;   in Loop: Header=BB25_37 Depth=1
	s_or_b32 exec_lo, exec_lo, s13
.LBB25_52:                              ;   in Loop: Header=BB25_37 Depth=1
	s_and_not1_saveexec_b32 s1, s1
	s_cbranch_execz .LBB25_35
; %bb.53:                               ;   in Loop: Header=BB25_37 Depth=1
	v_lshlrev_b64 v[11:12], 4, v[5:6]
	s_delay_alu instid0(VALU_DEP_1) | instskip(NEXT) | instid1(VALU_DEP_2)
	v_add_co_u32 v15, vcc_lo, v9, v11
	v_add_co_ci_u32_e32 v16, vcc_lo, v10, v12, vcc_lo
	global_load_b128 v[11:14], v[7:8], off offset:-8
	global_load_b128 v[18:21], v[15:16], off offset:-8
	s_waitcnt vmcnt(0)
	v_mul_f64 v[15:16], v[13:14], v[20:21]
	v_mul_f64 v[20:21], v[11:12], v[20:21]
	s_delay_alu instid0(VALU_DEP_2) | instskip(NEXT) | instid1(VALU_DEP_2)
	v_fma_f64 v[11:12], v[11:12], v[18:19], -v[15:16]
	v_fma_f64 v[13:14], v[13:14], v[18:19], v[20:21]
	s_delay_alu instid0(VALU_DEP_2) | instskip(NEXT) | instid1(VALU_DEP_2)
	v_add_f64 v[0:1], v[0:1], v[11:12]
	v_add_f64 v[2:3], v[2:3], v[13:14]
	s_branch .LBB25_35
.LBB25_54:                              ;   in Loop: Header=BB25_37 Depth=1
                                        ; implicit-def: $vgpr13_vgpr14
                                        ; implicit-def: $vgpr11_vgpr12
	s_branch .LBB25_49
.LBB25_55:                              ;   in Loop: Header=BB25_37 Depth=1
                                        ; implicit-def: $vgpr13_vgpr14
                                        ; implicit-def: $vgpr11_vgpr12
	s_branch .LBB25_43
.LBB25_56:
	s_or_b32 exec_lo, exec_lo, s20
.LBB25_57:
	s_delay_alu instid0(SALU_CYCLE_1)
	s_or_b32 exec_lo, exec_lo, s16
.LBB25_58:
	v_add_nc_u32_e32 v5, s14, v17
	v_cmp_gt_u32_e32 vcc_lo, 64, v17
	v_lshlrev_b32_e32 v4, 4, v17
	s_delay_alu instid0(VALU_DEP_3)
	v_cmp_gt_i32_e64 s0, s17, v5
	ds_store_b128 v4, v[0:3]
	s_waitcnt lgkmcnt(0)
	s_barrier
	s_and_b32 s0, vcc_lo, s0
	buffer_gl0_inv
	s_and_saveexec_b32 s1, s0
	s_cbranch_execz .LBB25_60
; %bb.59:
	ds_load_b128 v[0:3], v4
	ds_load_b128 v[6:9], v4 offset:1024
	s_lshl_b64 s[0:1], s[8:9], 4
	s_delay_alu instid0(SALU_CYCLE_1)
	s_add_u32 s0, s4, s0
	s_addc_u32 s1, s5, s1
	s_waitcnt lgkmcnt(0)
	v_add_f64 v[10:11], v[0:1], v[6:7]
	v_add_f64 v[12:13], v[2:3], v[8:9]
	ds_load_b128 v[0:3], v4 offset:2048
	ds_load_b128 v[6:9], v4 offset:3072
	s_waitcnt lgkmcnt(1)
	v_add_f64 v[0:1], v[10:11], v[0:1]
	v_add_f64 v[2:3], v[12:13], v[2:3]
	s_waitcnt lgkmcnt(0)
	s_delay_alu instid0(VALU_DEP_2) | instskip(NEXT) | instid1(VALU_DEP_2)
	v_add_f64 v[10:11], v[0:1], v[6:7]
	v_add_f64 v[12:13], v[2:3], v[8:9]
	ds_load_b128 v[0:3], v4 offset:4096
	ds_load_b128 v[6:9], v4 offset:5120
	s_waitcnt lgkmcnt(1)
	v_add_f64 v[0:1], v[10:11], v[0:1]
	v_add_f64 v[2:3], v[12:13], v[2:3]
	s_waitcnt lgkmcnt(0)
	s_delay_alu instid0(VALU_DEP_2) | instskip(NEXT) | instid1(VALU_DEP_2)
	;; [unrolled: 9-line block ×7, first 2 shown]
	v_add_f64 v[0:1], v[0:1], v[6:7]
	v_add_f64 v[2:3], v[2:3], v[8:9]
	v_ashrrev_i32_e32 v8, 31, v5
	v_mul_lo_u32 v9, v5, s11
	v_mad_u64_u32 v[6:7], null, v5, s10, 0
	s_delay_alu instid0(VALU_DEP_3) | instskip(NEXT) | instid1(VALU_DEP_1)
	v_mul_lo_u32 v5, v8, s10
	v_add3_u32 v7, v7, v9, v5
	s_delay_alu instid0(VALU_DEP_1) | instskip(NEXT) | instid1(VALU_DEP_1)
	v_lshlrev_b64 v[5:6], 4, v[6:7]
	v_add_co_u32 v5, vcc_lo, s0, v5
	s_delay_alu instid0(VALU_DEP_2)
	v_add_co_ci_u32_e32 v6, vcc_lo, s1, v6, vcc_lo
	ds_store_b128 v4, v[0:3]
	global_store_b128 v[5:6], v[0:3], off
.LBB25_60:
	s_nop 0
	s_sendmsg sendmsg(MSG_DEALLOC_VGPRS)
	s_endpgm
	.section	.rodata,"a",@progbits
	.p2align	6, 0x0
	.amdhsa_kernel _ZL20rocblas_tbmvx_kernelILi64ELi16EPKPK19rocblas_complex_numIdEPKPS1_Ev18rocblas_operation_bbiiT1_lllSA_T2_llli
		.amdhsa_group_segment_fixed_size 16384
		.amdhsa_private_segment_fixed_size 0
		.amdhsa_kernarg_size 352
		.amdhsa_user_sgpr_count 14
		.amdhsa_user_sgpr_dispatch_ptr 0
		.amdhsa_user_sgpr_queue_ptr 0
		.amdhsa_user_sgpr_kernarg_segment_ptr 1
		.amdhsa_user_sgpr_dispatch_id 0
		.amdhsa_user_sgpr_private_segment_size 0
		.amdhsa_wavefront_size32 1
		.amdhsa_uses_dynamic_stack 0
		.amdhsa_enable_private_segment 0
		.amdhsa_system_sgpr_workgroup_id_x 1
		.amdhsa_system_sgpr_workgroup_id_y 0
		.amdhsa_system_sgpr_workgroup_id_z 1
		.amdhsa_system_sgpr_workgroup_info 0
		.amdhsa_system_vgpr_workitem_id 1
		.amdhsa_next_free_vgpr 27
		.amdhsa_next_free_sgpr 28
		.amdhsa_reserve_vcc 1
		.amdhsa_float_round_mode_32 0
		.amdhsa_float_round_mode_16_64 0
		.amdhsa_float_denorm_mode_32 3
		.amdhsa_float_denorm_mode_16_64 3
		.amdhsa_dx10_clamp 1
		.amdhsa_ieee_mode 1
		.amdhsa_fp16_overflow 0
		.amdhsa_workgroup_processor_mode 1
		.amdhsa_memory_ordered 1
		.amdhsa_forward_progress 0
		.amdhsa_shared_vgpr_count 0
		.amdhsa_exception_fp_ieee_invalid_op 0
		.amdhsa_exception_fp_denorm_src 0
		.amdhsa_exception_fp_ieee_div_zero 0
		.amdhsa_exception_fp_ieee_overflow 0
		.amdhsa_exception_fp_ieee_underflow 0
		.amdhsa_exception_fp_ieee_inexact 0
		.amdhsa_exception_int_div_zero 0
	.end_amdhsa_kernel
	.section	.text._ZL20rocblas_tbmvx_kernelILi64ELi16EPKPK19rocblas_complex_numIdEPKPS1_Ev18rocblas_operation_bbiiT1_lllSA_T2_llli,"axG",@progbits,_ZL20rocblas_tbmvx_kernelILi64ELi16EPKPK19rocblas_complex_numIdEPKPS1_Ev18rocblas_operation_bbiiT1_lllSA_T2_llli,comdat
.Lfunc_end25:
	.size	_ZL20rocblas_tbmvx_kernelILi64ELi16EPKPK19rocblas_complex_numIdEPKPS1_Ev18rocblas_operation_bbiiT1_lllSA_T2_llli, .Lfunc_end25-_ZL20rocblas_tbmvx_kernelILi64ELi16EPKPK19rocblas_complex_numIdEPKPS1_Ev18rocblas_operation_bbiiT1_lllSA_T2_llli
                                        ; -- End function
	.section	.AMDGPU.csdata,"",@progbits
; Kernel info:
; codeLenInByte = 2860
; NumSgprs: 30
; NumVgprs: 27
; ScratchSize: 0
; MemoryBound: 1
; FloatMode: 240
; IeeeMode: 1
; LDSByteSize: 16384 bytes/workgroup (compile time only)
; SGPRBlocks: 3
; VGPRBlocks: 3
; NumSGPRsForWavesPerEU: 30
; NumVGPRsForWavesPerEU: 27
; Occupancy: 16
; WaveLimiterHint : 1
; COMPUTE_PGM_RSRC2:SCRATCH_EN: 0
; COMPUTE_PGM_RSRC2:USER_SGPR: 14
; COMPUTE_PGM_RSRC2:TRAP_HANDLER: 0
; COMPUTE_PGM_RSRC2:TGID_X_EN: 1
; COMPUTE_PGM_RSRC2:TGID_Y_EN: 0
; COMPUTE_PGM_RSRC2:TGID_Z_EN: 1
; COMPUTE_PGM_RSRC2:TIDIG_COMP_CNT: 1
	.text
	.p2alignl 7, 3214868480
	.fill 96, 4, 3214868480
	.type	__hip_cuid_a9285007ab292365,@object ; @__hip_cuid_a9285007ab292365
	.section	.bss,"aw",@nobits
	.globl	__hip_cuid_a9285007ab292365
__hip_cuid_a9285007ab292365:
	.byte	0                               ; 0x0
	.size	__hip_cuid_a9285007ab292365, 1

	.ident	"AMD clang version 19.0.0git (https://github.com/RadeonOpenCompute/llvm-project roc-6.4.0 25133 c7fe45cf4b819c5991fe208aaa96edf142730f1d)"
	.section	".note.GNU-stack","",@progbits
	.addrsig
	.addrsig_sym __hip_cuid_a9285007ab292365
	.amdgpu_metadata
---
amdhsa.kernels:
  - .args:
      - .offset:         0
        .size:           4
        .value_kind:     by_value
      - .address_space:  global
        .offset:         8
        .size:           8
        .value_kind:     global_buffer
      - .offset:         16
        .size:           8
        .value_kind:     by_value
      - .offset:         24
        .size:           8
        .value_kind:     by_value
      - .offset:         32
        .size:           8
        .value_kind:     by_value
      - .address_space:  global
        .offset:         40
        .size:           8
        .value_kind:     global_buffer
      - .offset:         48
        .size:           8
        .value_kind:     by_value
      - .offset:         56
        .size:           8
        .value_kind:     by_value
      - .offset:         64
        .size:           8
        .value_kind:     by_value
      - .offset:         72
        .size:           4
        .value_kind:     by_value
    .group_segment_fixed_size: 0
    .kernarg_segment_align: 8
    .kernarg_segment_size: 76
    .language:       OpenCL C
    .language_version:
      - 2
      - 0
    .max_flat_workgroup_size: 256
    .name:           _ZL19rocblas_copy_kernelIlLi256EPfS0_EviT1_lT_lT2_lS2_li
    .private_segment_fixed_size: 0
    .sgpr_count:     34
    .sgpr_spill_count: 0
    .symbol:         _ZL19rocblas_copy_kernelIlLi256EPfS0_EviT1_lT_lT2_lS2_li.kd
    .uniform_work_group_size: 1
    .uses_dynamic_stack: false
    .vgpr_count:     6
    .vgpr_spill_count: 0
    .wavefront_size: 32
    .workgroup_processor_mode: 1
  - .args:
      - .offset:         0
        .size:           4
        .value_kind:     by_value
      - .actual_access:  read_only
        .address_space:  global
        .offset:         8
        .size:           8
        .value_kind:     global_buffer
      - .offset:         16
        .size:           8
        .value_kind:     by_value
      - .offset:         24
        .size:           8
        .value_kind:     by_value
      - .actual_access:  write_only
        .address_space:  global
        .offset:         32
        .size:           8
        .value_kind:     global_buffer
      - .offset:         40
        .size:           8
        .value_kind:     by_value
      - .offset:         48
        .size:           8
        .value_kind:     by_value
      - .offset:         56
        .size:           4
        .value_kind:     by_value
    .group_segment_fixed_size: 0
    .kernarg_segment_align: 8
    .kernarg_segment_size: 60
    .language:       OpenCL C
    .language_version:
      - 2
      - 0
    .max_flat_workgroup_size: 256
    .name:           _ZL22rocblas_scopy_2_kernelILi256EPfS0_EviT0_llT1_lli
    .private_segment_fixed_size: 0
    .sgpr_count:     20
    .sgpr_spill_count: 0
    .symbol:         _ZL22rocblas_scopy_2_kernelILi256EPfS0_EviT0_llT1_lli.kd
    .uniform_work_group_size: 1
    .uses_dynamic_stack: false
    .vgpr_count:     8
    .vgpr_spill_count: 0
    .wavefront_size: 32
    .workgroup_processor_mode: 1
  - .args:
      - .offset:         0
        .size:           4
        .value_kind:     by_value
      - .address_space:  global
        .offset:         8
        .size:           8
        .value_kind:     global_buffer
      - .offset:         16
        .size:           8
        .value_kind:     by_value
      - .offset:         24
        .size:           4
        .value_kind:     by_value
      - .offset:         32
        .size:           8
        .value_kind:     by_value
      - .address_space:  global
        .offset:         40
        .size:           8
        .value_kind:     global_buffer
      - .offset:         48
        .size:           8
        .value_kind:     by_value
      - .offset:         56
        .size:           4
        .value_kind:     by_value
      - .offset:         64
        .size:           8
        .value_kind:     by_value
      - .offset:         72
        .size:           4
        .value_kind:     by_value
    .group_segment_fixed_size: 0
    .kernarg_segment_align: 8
    .kernarg_segment_size: 76
    .language:       OpenCL C
    .language_version:
      - 2
      - 0
    .max_flat_workgroup_size: 256
    .name:           _ZL19rocblas_copy_kernelIiLi256EPfS0_EviT1_lT_lT2_lS2_li
    .private_segment_fixed_size: 0
    .sgpr_count:     19
    .sgpr_spill_count: 0
    .symbol:         _ZL19rocblas_copy_kernelIiLi256EPfS0_EviT1_lT_lT2_lS2_li.kd
    .uniform_work_group_size: 1
    .uses_dynamic_stack: false
    .vgpr_count:     6
    .vgpr_spill_count: 0
    .wavefront_size: 32
    .workgroup_processor_mode: 1
  - .args:
      - .offset:         0
        .size:           4
        .value_kind:     by_value
      - .offset:         4
        .size:           1
        .value_kind:     by_value
      - .offset:         5
        .size:           1
        .value_kind:     by_value
      - .offset:         8
        .size:           4
        .value_kind:     by_value
      - .offset:         12
        .size:           4
        .value_kind:     by_value
      - .address_space:  global
        .offset:         16
        .size:           8
        .value_kind:     global_buffer
      - .offset:         24
        .size:           8
        .value_kind:     by_value
      - .offset:         32
        .size:           8
        .value_kind:     by_value
      - .offset:         40
        .size:           8
        .value_kind:     by_value
      - .address_space:  global
        .offset:         48
        .size:           8
        .value_kind:     global_buffer
      - .address_space:  global
        .offset:         56
        .size:           8
        .value_kind:     global_buffer
      - .offset:         64
        .size:           8
        .value_kind:     by_value
      - .offset:         72
        .size:           8
        .value_kind:     by_value
      - .offset:         80
        .size:           8
        .value_kind:     by_value
      - .offset:         88
        .size:           4
        .value_kind:     by_value
      - .offset:         96
        .size:           4
        .value_kind:     hidden_block_count_x
      - .offset:         100
        .size:           4
        .value_kind:     hidden_block_count_y
      - .offset:         104
        .size:           4
        .value_kind:     hidden_block_count_z
      - .offset:         108
        .size:           2
        .value_kind:     hidden_group_size_x
      - .offset:         110
        .size:           2
        .value_kind:     hidden_group_size_y
      - .offset:         112
        .size:           2
        .value_kind:     hidden_group_size_z
      - .offset:         114
        .size:           2
        .value_kind:     hidden_remainder_x
      - .offset:         116
        .size:           2
        .value_kind:     hidden_remainder_y
      - .offset:         118
        .size:           2
        .value_kind:     hidden_remainder_z
      - .offset:         136
        .size:           8
        .value_kind:     hidden_global_offset_x
      - .offset:         144
        .size:           8
        .value_kind:     hidden_global_offset_y
      - .offset:         152
        .size:           8
        .value_kind:     hidden_global_offset_z
      - .offset:         160
        .size:           2
        .value_kind:     hidden_grid_dims
    .group_segment_fixed_size: 4096
    .kernarg_segment_align: 8
    .kernarg_segment_size: 352
    .language:       OpenCL C
    .language_version:
      - 2
      - 0
    .max_flat_workgroup_size: 1024
    .name:           _ZL20rocblas_tbmvx_kernelILi64ELi16EPKfPfEv18rocblas_operation_bbiiT1_lllS4_T2_llli
    .private_segment_fixed_size: 0
    .sgpr_count:     39
    .sgpr_spill_count: 0
    .symbol:         _ZL20rocblas_tbmvx_kernelILi64ELi16EPKfPfEv18rocblas_operation_bbiiT1_lllS4_T2_llli.kd
    .uniform_work_group_size: 1
    .uses_dynamic_stack: false
    .vgpr_count:     17
    .vgpr_spill_count: 0
    .wavefront_size: 32
    .workgroup_processor_mode: 1
  - .args:
      - .offset:         0
        .size:           4
        .value_kind:     by_value
      - .address_space:  global
        .offset:         8
        .size:           8
        .value_kind:     global_buffer
      - .offset:         16
        .size:           8
        .value_kind:     by_value
      - .offset:         24
        .size:           8
        .value_kind:     by_value
      - .offset:         32
        .size:           8
        .value_kind:     by_value
      - .address_space:  global
        .offset:         40
        .size:           8
        .value_kind:     global_buffer
      - .offset:         48
        .size:           8
        .value_kind:     by_value
      - .offset:         56
        .size:           8
        .value_kind:     by_value
      - .offset:         64
        .size:           8
        .value_kind:     by_value
      - .offset:         72
        .size:           4
        .value_kind:     by_value
    .group_segment_fixed_size: 0
    .kernarg_segment_align: 8
    .kernarg_segment_size: 76
    .language:       OpenCL C
    .language_version:
      - 2
      - 0
    .max_flat_workgroup_size: 256
    .name:           _ZL19rocblas_copy_kernelIlLi256EPdS0_EviT1_lT_lT2_lS2_li
    .private_segment_fixed_size: 0
    .sgpr_count:     34
    .sgpr_spill_count: 0
    .symbol:         _ZL19rocblas_copy_kernelIlLi256EPdS0_EviT1_lT_lT2_lS2_li.kd
    .uniform_work_group_size: 1
    .uses_dynamic_stack: false
    .vgpr_count:     7
    .vgpr_spill_count: 0
    .wavefront_size: 32
    .workgroup_processor_mode: 1
  - .args:
      - .offset:         0
        .size:           4
        .value_kind:     by_value
      - .address_space:  global
        .offset:         8
        .size:           8
        .value_kind:     global_buffer
      - .offset:         16
        .size:           8
        .value_kind:     by_value
      - .offset:         24
        .size:           4
        .value_kind:     by_value
      - .offset:         32
        .size:           8
        .value_kind:     by_value
      - .address_space:  global
        .offset:         40
        .size:           8
        .value_kind:     global_buffer
      - .offset:         48
        .size:           8
        .value_kind:     by_value
      - .offset:         56
        .size:           4
        .value_kind:     by_value
      - .offset:         64
        .size:           8
        .value_kind:     by_value
      - .offset:         72
        .size:           4
        .value_kind:     by_value
    .group_segment_fixed_size: 0
    .kernarg_segment_align: 8
    .kernarg_segment_size: 76
    .language:       OpenCL C
    .language_version:
      - 2
      - 0
    .max_flat_workgroup_size: 256
    .name:           _ZL19rocblas_copy_kernelIiLi256EPdS0_EviT1_lT_lT2_lS2_li
    .private_segment_fixed_size: 0
    .sgpr_count:     19
    .sgpr_spill_count: 0
    .symbol:         _ZL19rocblas_copy_kernelIiLi256EPdS0_EviT1_lT_lT2_lS2_li.kd
    .uniform_work_group_size: 1
    .uses_dynamic_stack: false
    .vgpr_count:     7
    .vgpr_spill_count: 0
    .wavefront_size: 32
    .workgroup_processor_mode: 1
  - .args:
      - .offset:         0
        .size:           4
        .value_kind:     by_value
      - .offset:         4
        .size:           1
        .value_kind:     by_value
      - .offset:         5
        .size:           1
        .value_kind:     by_value
      - .offset:         8
        .size:           4
        .value_kind:     by_value
      - .offset:         12
        .size:           4
        .value_kind:     by_value
      - .address_space:  global
        .offset:         16
        .size:           8
        .value_kind:     global_buffer
      - .offset:         24
        .size:           8
        .value_kind:     by_value
      - .offset:         32
        .size:           8
        .value_kind:     by_value
      - .offset:         40
        .size:           8
        .value_kind:     by_value
      - .address_space:  global
        .offset:         48
        .size:           8
        .value_kind:     global_buffer
      - .address_space:  global
        .offset:         56
        .size:           8
        .value_kind:     global_buffer
      - .offset:         64
        .size:           8
        .value_kind:     by_value
      - .offset:         72
        .size:           8
        .value_kind:     by_value
      - .offset:         80
        .size:           8
        .value_kind:     by_value
      - .offset:         88
        .size:           4
        .value_kind:     by_value
      - .offset:         96
        .size:           4
        .value_kind:     hidden_block_count_x
      - .offset:         100
        .size:           4
        .value_kind:     hidden_block_count_y
      - .offset:         104
        .size:           4
        .value_kind:     hidden_block_count_z
      - .offset:         108
        .size:           2
        .value_kind:     hidden_group_size_x
      - .offset:         110
        .size:           2
        .value_kind:     hidden_group_size_y
      - .offset:         112
        .size:           2
        .value_kind:     hidden_group_size_z
      - .offset:         114
        .size:           2
        .value_kind:     hidden_remainder_x
      - .offset:         116
        .size:           2
        .value_kind:     hidden_remainder_y
      - .offset:         118
        .size:           2
        .value_kind:     hidden_remainder_z
      - .offset:         136
        .size:           8
        .value_kind:     hidden_global_offset_x
      - .offset:         144
        .size:           8
        .value_kind:     hidden_global_offset_y
      - .offset:         152
        .size:           8
        .value_kind:     hidden_global_offset_z
      - .offset:         160
        .size:           2
        .value_kind:     hidden_grid_dims
    .group_segment_fixed_size: 8192
    .kernarg_segment_align: 8
    .kernarg_segment_size: 352
    .language:       OpenCL C
    .language_version:
      - 2
      - 0
    .max_flat_workgroup_size: 1024
    .name:           _ZL20rocblas_tbmvx_kernelILi64ELi16EPKdPdEv18rocblas_operation_bbiiT1_lllS4_T2_llli
    .private_segment_fixed_size: 0
    .sgpr_count:     39
    .sgpr_spill_count: 0
    .symbol:         _ZL20rocblas_tbmvx_kernelILi64ELi16EPKdPdEv18rocblas_operation_bbiiT1_lllS4_T2_llli.kd
    .uniform_work_group_size: 1
    .uses_dynamic_stack: false
    .vgpr_count:     19
    .vgpr_spill_count: 0
    .wavefront_size: 32
    .workgroup_processor_mode: 1
  - .args:
      - .offset:         0
        .size:           4
        .value_kind:     by_value
      - .address_space:  global
        .offset:         8
        .size:           8
        .value_kind:     global_buffer
      - .offset:         16
        .size:           8
        .value_kind:     by_value
      - .offset:         24
        .size:           8
        .value_kind:     by_value
      - .offset:         32
        .size:           8
        .value_kind:     by_value
      - .address_space:  global
        .offset:         40
        .size:           8
        .value_kind:     global_buffer
      - .offset:         48
        .size:           8
        .value_kind:     by_value
      - .offset:         56
        .size:           8
        .value_kind:     by_value
      - .offset:         64
        .size:           8
        .value_kind:     by_value
      - .offset:         72
        .size:           4
        .value_kind:     by_value
    .group_segment_fixed_size: 0
    .kernarg_segment_align: 8
    .kernarg_segment_size: 76
    .language:       OpenCL C
    .language_version:
      - 2
      - 0
    .max_flat_workgroup_size: 256
    .name:           _ZL19rocblas_copy_kernelIlLi256EP19rocblas_complex_numIfES2_EviT1_lT_lT2_lS4_li
    .private_segment_fixed_size: 0
    .sgpr_count:     34
    .sgpr_spill_count: 0
    .symbol:         _ZL19rocblas_copy_kernelIlLi256EP19rocblas_complex_numIfES2_EviT1_lT_lT2_lS4_li.kd
    .uniform_work_group_size: 1
    .uses_dynamic_stack: false
    .vgpr_count:     7
    .vgpr_spill_count: 0
    .wavefront_size: 32
    .workgroup_processor_mode: 1
  - .args:
      - .offset:         0
        .size:           4
        .value_kind:     by_value
      - .address_space:  global
        .offset:         8
        .size:           8
        .value_kind:     global_buffer
      - .offset:         16
        .size:           8
        .value_kind:     by_value
      - .offset:         24
        .size:           4
        .value_kind:     by_value
      - .offset:         32
        .size:           8
        .value_kind:     by_value
      - .address_space:  global
        .offset:         40
        .size:           8
        .value_kind:     global_buffer
      - .offset:         48
        .size:           8
        .value_kind:     by_value
      - .offset:         56
        .size:           4
        .value_kind:     by_value
      - .offset:         64
        .size:           8
        .value_kind:     by_value
      - .offset:         72
        .size:           4
        .value_kind:     by_value
    .group_segment_fixed_size: 0
    .kernarg_segment_align: 8
    .kernarg_segment_size: 76
    .language:       OpenCL C
    .language_version:
      - 2
      - 0
    .max_flat_workgroup_size: 256
    .name:           _ZL19rocblas_copy_kernelIiLi256EP19rocblas_complex_numIfES2_EviT1_lT_lT2_lS4_li
    .private_segment_fixed_size: 0
    .sgpr_count:     19
    .sgpr_spill_count: 0
    .symbol:         _ZL19rocblas_copy_kernelIiLi256EP19rocblas_complex_numIfES2_EviT1_lT_lT2_lS4_li.kd
    .uniform_work_group_size: 1
    .uses_dynamic_stack: false
    .vgpr_count:     7
    .vgpr_spill_count: 0
    .wavefront_size: 32
    .workgroup_processor_mode: 1
  - .args:
      - .offset:         0
        .size:           4
        .value_kind:     by_value
      - .offset:         4
        .size:           1
        .value_kind:     by_value
      - .offset:         5
        .size:           1
        .value_kind:     by_value
      - .offset:         8
        .size:           4
        .value_kind:     by_value
      - .offset:         12
        .size:           4
        .value_kind:     by_value
      - .address_space:  global
        .offset:         16
        .size:           8
        .value_kind:     global_buffer
      - .offset:         24
        .size:           8
        .value_kind:     by_value
      - .offset:         32
        .size:           8
        .value_kind:     by_value
      - .offset:         40
        .size:           8
        .value_kind:     by_value
      - .address_space:  global
        .offset:         48
        .size:           8
        .value_kind:     global_buffer
      - .address_space:  global
        .offset:         56
        .size:           8
        .value_kind:     global_buffer
      - .offset:         64
        .size:           8
        .value_kind:     by_value
      - .offset:         72
        .size:           8
        .value_kind:     by_value
      - .offset:         80
        .size:           8
        .value_kind:     by_value
      - .offset:         88
        .size:           4
        .value_kind:     by_value
      - .offset:         96
        .size:           4
        .value_kind:     hidden_block_count_x
      - .offset:         100
        .size:           4
        .value_kind:     hidden_block_count_y
      - .offset:         104
        .size:           4
        .value_kind:     hidden_block_count_z
      - .offset:         108
        .size:           2
        .value_kind:     hidden_group_size_x
      - .offset:         110
        .size:           2
        .value_kind:     hidden_group_size_y
      - .offset:         112
        .size:           2
        .value_kind:     hidden_group_size_z
      - .offset:         114
        .size:           2
        .value_kind:     hidden_remainder_x
      - .offset:         116
        .size:           2
        .value_kind:     hidden_remainder_y
      - .offset:         118
        .size:           2
        .value_kind:     hidden_remainder_z
      - .offset:         136
        .size:           8
        .value_kind:     hidden_global_offset_x
      - .offset:         144
        .size:           8
        .value_kind:     hidden_global_offset_y
      - .offset:         152
        .size:           8
        .value_kind:     hidden_global_offset_z
      - .offset:         160
        .size:           2
        .value_kind:     hidden_grid_dims
    .group_segment_fixed_size: 8192
    .kernarg_segment_align: 8
    .kernarg_segment_size: 352
    .language:       OpenCL C
    .language_version:
      - 2
      - 0
    .max_flat_workgroup_size: 1024
    .name:           _ZL20rocblas_tbmvx_kernelILi64ELi16EPK19rocblas_complex_numIfEPS1_Ev18rocblas_operation_bbiiT1_lllS6_T2_llli
    .private_segment_fixed_size: 0
    .sgpr_count:     41
    .sgpr_spill_count: 0
    .symbol:         _ZL20rocblas_tbmvx_kernelILi64ELi16EPK19rocblas_complex_numIfEPS1_Ev18rocblas_operation_bbiiT1_lllS6_T2_llli.kd
    .uniform_work_group_size: 1
    .uses_dynamic_stack: false
    .vgpr_count:     19
    .vgpr_spill_count: 0
    .wavefront_size: 32
    .workgroup_processor_mode: 1
  - .args:
      - .offset:         0
        .size:           4
        .value_kind:     by_value
      - .address_space:  global
        .offset:         8
        .size:           8
        .value_kind:     global_buffer
      - .offset:         16
        .size:           8
        .value_kind:     by_value
      - .offset:         24
        .size:           8
        .value_kind:     by_value
      - .offset:         32
        .size:           8
        .value_kind:     by_value
      - .address_space:  global
        .offset:         40
        .size:           8
        .value_kind:     global_buffer
      - .offset:         48
        .size:           8
        .value_kind:     by_value
      - .offset:         56
        .size:           8
        .value_kind:     by_value
      - .offset:         64
        .size:           8
        .value_kind:     by_value
      - .offset:         72
        .size:           4
        .value_kind:     by_value
    .group_segment_fixed_size: 0
    .kernarg_segment_align: 8
    .kernarg_segment_size: 76
    .language:       OpenCL C
    .language_version:
      - 2
      - 0
    .max_flat_workgroup_size: 256
    .name:           _ZL19rocblas_copy_kernelIlLi256EP19rocblas_complex_numIdES2_EviT1_lT_lT2_lS4_li
    .private_segment_fixed_size: 0
    .sgpr_count:     34
    .sgpr_spill_count: 0
    .symbol:         _ZL19rocblas_copy_kernelIlLi256EP19rocblas_complex_numIdES2_EviT1_lT_lT2_lS4_li.kd
    .uniform_work_group_size: 1
    .uses_dynamic_stack: false
    .vgpr_count:     9
    .vgpr_spill_count: 0
    .wavefront_size: 32
    .workgroup_processor_mode: 1
  - .args:
      - .offset:         0
        .size:           4
        .value_kind:     by_value
      - .address_space:  global
        .offset:         8
        .size:           8
        .value_kind:     global_buffer
      - .offset:         16
        .size:           8
        .value_kind:     by_value
      - .offset:         24
        .size:           4
        .value_kind:     by_value
      - .offset:         32
        .size:           8
        .value_kind:     by_value
      - .address_space:  global
        .offset:         40
        .size:           8
        .value_kind:     global_buffer
      - .offset:         48
        .size:           8
        .value_kind:     by_value
      - .offset:         56
        .size:           4
        .value_kind:     by_value
      - .offset:         64
        .size:           8
        .value_kind:     by_value
      - .offset:         72
        .size:           4
        .value_kind:     by_value
    .group_segment_fixed_size: 0
    .kernarg_segment_align: 8
    .kernarg_segment_size: 76
    .language:       OpenCL C
    .language_version:
      - 2
      - 0
    .max_flat_workgroup_size: 256
    .name:           _ZL19rocblas_copy_kernelIiLi256EP19rocblas_complex_numIdES2_EviT1_lT_lT2_lS4_li
    .private_segment_fixed_size: 0
    .sgpr_count:     19
    .sgpr_spill_count: 0
    .symbol:         _ZL19rocblas_copy_kernelIiLi256EP19rocblas_complex_numIdES2_EviT1_lT_lT2_lS4_li.kd
    .uniform_work_group_size: 1
    .uses_dynamic_stack: false
    .vgpr_count:     9
    .vgpr_spill_count: 0
    .wavefront_size: 32
    .workgroup_processor_mode: 1
  - .args:
      - .offset:         0
        .size:           4
        .value_kind:     by_value
      - .offset:         4
        .size:           1
        .value_kind:     by_value
      - .offset:         5
        .size:           1
        .value_kind:     by_value
      - .offset:         8
        .size:           4
        .value_kind:     by_value
      - .offset:         12
        .size:           4
        .value_kind:     by_value
      - .address_space:  global
        .offset:         16
        .size:           8
        .value_kind:     global_buffer
      - .offset:         24
        .size:           8
        .value_kind:     by_value
      - .offset:         32
        .size:           8
        .value_kind:     by_value
      - .offset:         40
        .size:           8
        .value_kind:     by_value
      - .address_space:  global
        .offset:         48
        .size:           8
        .value_kind:     global_buffer
      - .address_space:  global
        .offset:         56
        .size:           8
        .value_kind:     global_buffer
      - .offset:         64
        .size:           8
        .value_kind:     by_value
      - .offset:         72
        .size:           8
        .value_kind:     by_value
      - .offset:         80
        .size:           8
        .value_kind:     by_value
      - .offset:         88
        .size:           4
        .value_kind:     by_value
      - .offset:         96
        .size:           4
        .value_kind:     hidden_block_count_x
      - .offset:         100
        .size:           4
        .value_kind:     hidden_block_count_y
      - .offset:         104
        .size:           4
        .value_kind:     hidden_block_count_z
      - .offset:         108
        .size:           2
        .value_kind:     hidden_group_size_x
      - .offset:         110
        .size:           2
        .value_kind:     hidden_group_size_y
      - .offset:         112
        .size:           2
        .value_kind:     hidden_group_size_z
      - .offset:         114
        .size:           2
        .value_kind:     hidden_remainder_x
      - .offset:         116
        .size:           2
        .value_kind:     hidden_remainder_y
      - .offset:         118
        .size:           2
        .value_kind:     hidden_remainder_z
      - .offset:         136
        .size:           8
        .value_kind:     hidden_global_offset_x
      - .offset:         144
        .size:           8
        .value_kind:     hidden_global_offset_y
      - .offset:         152
        .size:           8
        .value_kind:     hidden_global_offset_z
      - .offset:         160
        .size:           2
        .value_kind:     hidden_grid_dims
    .group_segment_fixed_size: 16384
    .kernarg_segment_align: 8
    .kernarg_segment_size: 352
    .language:       OpenCL C
    .language_version:
      - 2
      - 0
    .max_flat_workgroup_size: 1024
    .name:           _ZL20rocblas_tbmvx_kernelILi64ELi16EPK19rocblas_complex_numIdEPS1_Ev18rocblas_operation_bbiiT1_lllS6_T2_llli
    .private_segment_fixed_size: 0
    .sgpr_count:     40
    .sgpr_spill_count: 0
    .symbol:         _ZL20rocblas_tbmvx_kernelILi64ELi16EPK19rocblas_complex_numIdEPS1_Ev18rocblas_operation_bbiiT1_lllS6_T2_llli.kd
    .uniform_work_group_size: 1
    .uses_dynamic_stack: false
    .vgpr_count:     27
    .vgpr_spill_count: 0
    .wavefront_size: 32
    .workgroup_processor_mode: 1
  - .args:
      - .offset:         0
        .size:           4
        .value_kind:     by_value
      - .address_space:  global
        .offset:         8
        .size:           8
        .value_kind:     global_buffer
      - .offset:         16
        .size:           8
        .value_kind:     by_value
      - .offset:         24
        .size:           8
        .value_kind:     by_value
      - .offset:         32
        .size:           8
        .value_kind:     by_value
      - .address_space:  global
        .offset:         40
        .size:           8
        .value_kind:     global_buffer
      - .offset:         48
        .size:           8
        .value_kind:     by_value
      - .offset:         56
        .size:           8
        .value_kind:     by_value
      - .offset:         64
        .size:           8
        .value_kind:     by_value
      - .offset:         72
        .size:           4
        .value_kind:     by_value
    .group_segment_fixed_size: 0
    .kernarg_segment_align: 8
    .kernarg_segment_size: 76
    .language:       OpenCL C
    .language_version:
      - 2
      - 0
    .max_flat_workgroup_size: 256
    .name:           _ZL19rocblas_copy_kernelIlLi256EPKPfS2_EviT1_lT_lT2_lS4_li
    .private_segment_fixed_size: 0
    .sgpr_count:     18
    .sgpr_spill_count: 0
    .symbol:         _ZL19rocblas_copy_kernelIlLi256EPKPfS2_EviT1_lT_lT2_lS4_li.kd
    .uniform_work_group_size: 1
    .uses_dynamic_stack: false
    .vgpr_count:     6
    .vgpr_spill_count: 0
    .wavefront_size: 32
    .workgroup_processor_mode: 1
  - .args:
      - .offset:         0
        .size:           4
        .value_kind:     by_value
      - .actual_access:  read_only
        .address_space:  global
        .offset:         8
        .size:           8
        .value_kind:     global_buffer
      - .offset:         16
        .size:           8
        .value_kind:     by_value
      - .offset:         24
        .size:           8
        .value_kind:     by_value
      - .actual_access:  read_only
        .address_space:  global
        .offset:         32
        .size:           8
        .value_kind:     global_buffer
      - .offset:         40
        .size:           8
        .value_kind:     by_value
      - .offset:         48
        .size:           8
        .value_kind:     by_value
      - .offset:         56
        .size:           4
        .value_kind:     by_value
    .group_segment_fixed_size: 0
    .kernarg_segment_align: 8
    .kernarg_segment_size: 60
    .language:       OpenCL C
    .language_version:
      - 2
      - 0
    .max_flat_workgroup_size: 256
    .name:           _ZL22rocblas_scopy_2_kernelILi256EPKPfS2_EviT0_llT1_lli
    .private_segment_fixed_size: 0
    .sgpr_count:     18
    .sgpr_spill_count: 0
    .symbol:         _ZL22rocblas_scopy_2_kernelILi256EPKPfS2_EviT0_llT1_lli.kd
    .uniform_work_group_size: 1
    .uses_dynamic_stack: false
    .vgpr_count:     9
    .vgpr_spill_count: 0
    .wavefront_size: 32
    .workgroup_processor_mode: 1
  - .args:
      - .offset:         0
        .size:           4
        .value_kind:     by_value
      - .address_space:  global
        .offset:         8
        .size:           8
        .value_kind:     global_buffer
      - .offset:         16
        .size:           8
        .value_kind:     by_value
      - .offset:         24
        .size:           4
        .value_kind:     by_value
      - .offset:         32
        .size:           8
        .value_kind:     by_value
      - .address_space:  global
        .offset:         40
        .size:           8
        .value_kind:     global_buffer
      - .offset:         48
        .size:           8
        .value_kind:     by_value
      - .offset:         56
        .size:           4
        .value_kind:     by_value
      - .offset:         64
        .size:           8
        .value_kind:     by_value
      - .offset:         72
        .size:           4
        .value_kind:     by_value
    .group_segment_fixed_size: 0
    .kernarg_segment_align: 8
    .kernarg_segment_size: 76
    .language:       OpenCL C
    .language_version:
      - 2
      - 0
    .max_flat_workgroup_size: 256
    .name:           _ZL19rocblas_copy_kernelIiLi256EPKPfS2_EviT1_lT_lT2_lS4_li
    .private_segment_fixed_size: 0
    .sgpr_count:     18
    .sgpr_spill_count: 0
    .symbol:         _ZL19rocblas_copy_kernelIiLi256EPKPfS2_EviT1_lT_lT2_lS4_li.kd
    .uniform_work_group_size: 1
    .uses_dynamic_stack: false
    .vgpr_count:     6
    .vgpr_spill_count: 0
    .wavefront_size: 32
    .workgroup_processor_mode: 1
  - .args:
      - .offset:         0
        .size:           4
        .value_kind:     by_value
      - .offset:         4
        .size:           1
        .value_kind:     by_value
      - .offset:         5
        .size:           1
        .value_kind:     by_value
      - .offset:         8
        .size:           4
        .value_kind:     by_value
      - .offset:         12
        .size:           4
        .value_kind:     by_value
      - .address_space:  global
        .offset:         16
        .size:           8
        .value_kind:     global_buffer
      - .offset:         24
        .size:           8
        .value_kind:     by_value
      - .offset:         32
        .size:           8
        .value_kind:     by_value
      - .offset:         40
        .size:           8
        .value_kind:     by_value
      - .address_space:  global
        .offset:         48
        .size:           8
        .value_kind:     global_buffer
      - .address_space:  global
        .offset:         56
        .size:           8
        .value_kind:     global_buffer
      - .offset:         64
        .size:           8
        .value_kind:     by_value
      - .offset:         72
        .size:           8
        .value_kind:     by_value
      - .offset:         80
        .size:           8
        .value_kind:     by_value
      - .offset:         88
        .size:           4
        .value_kind:     by_value
      - .offset:         96
        .size:           4
        .value_kind:     hidden_block_count_x
      - .offset:         100
        .size:           4
        .value_kind:     hidden_block_count_y
      - .offset:         104
        .size:           4
        .value_kind:     hidden_block_count_z
      - .offset:         108
        .size:           2
        .value_kind:     hidden_group_size_x
      - .offset:         110
        .size:           2
        .value_kind:     hidden_group_size_y
      - .offset:         112
        .size:           2
        .value_kind:     hidden_group_size_z
      - .offset:         114
        .size:           2
        .value_kind:     hidden_remainder_x
      - .offset:         116
        .size:           2
        .value_kind:     hidden_remainder_y
      - .offset:         118
        .size:           2
        .value_kind:     hidden_remainder_z
      - .offset:         136
        .size:           8
        .value_kind:     hidden_global_offset_x
      - .offset:         144
        .size:           8
        .value_kind:     hidden_global_offset_y
      - .offset:         152
        .size:           8
        .value_kind:     hidden_global_offset_z
      - .offset:         160
        .size:           2
        .value_kind:     hidden_grid_dims
    .group_segment_fixed_size: 4096
    .kernarg_segment_align: 8
    .kernarg_segment_size: 352
    .language:       OpenCL C
    .language_version:
      - 2
      - 0
    .max_flat_workgroup_size: 1024
    .name:           _ZL20rocblas_tbmvx_kernelILi64ELi16EPKPKfPKPfEv18rocblas_operation_bbiiT1_lllS8_T2_llli
    .private_segment_fixed_size: 0
    .sgpr_count:     30
    .sgpr_spill_count: 0
    .symbol:         _ZL20rocblas_tbmvx_kernelILi64ELi16EPKPKfPKPfEv18rocblas_operation_bbiiT1_lllS8_T2_llli.kd
    .uniform_work_group_size: 1
    .uses_dynamic_stack: false
    .vgpr_count:     17
    .vgpr_spill_count: 0
    .wavefront_size: 32
    .workgroup_processor_mode: 1
  - .args:
      - .offset:         0
        .size:           4
        .value_kind:     by_value
      - .address_space:  global
        .offset:         8
        .size:           8
        .value_kind:     global_buffer
      - .offset:         16
        .size:           8
        .value_kind:     by_value
      - .offset:         24
        .size:           8
        .value_kind:     by_value
      - .offset:         32
        .size:           8
        .value_kind:     by_value
      - .address_space:  global
        .offset:         40
        .size:           8
        .value_kind:     global_buffer
      - .offset:         48
        .size:           8
        .value_kind:     by_value
      - .offset:         56
        .size:           8
        .value_kind:     by_value
      - .offset:         64
        .size:           8
        .value_kind:     by_value
      - .offset:         72
        .size:           4
        .value_kind:     by_value
    .group_segment_fixed_size: 0
    .kernarg_segment_align: 8
    .kernarg_segment_size: 76
    .language:       OpenCL C
    .language_version:
      - 2
      - 0
    .max_flat_workgroup_size: 256
    .name:           _ZL19rocblas_copy_kernelIlLi256EPKPdS2_EviT1_lT_lT2_lS4_li
    .private_segment_fixed_size: 0
    .sgpr_count:     18
    .sgpr_spill_count: 0
    .symbol:         _ZL19rocblas_copy_kernelIlLi256EPKPdS2_EviT1_lT_lT2_lS4_li.kd
    .uniform_work_group_size: 1
    .uses_dynamic_stack: false
    .vgpr_count:     7
    .vgpr_spill_count: 0
    .wavefront_size: 32
    .workgroup_processor_mode: 1
  - .args:
      - .offset:         0
        .size:           4
        .value_kind:     by_value
      - .address_space:  global
        .offset:         8
        .size:           8
        .value_kind:     global_buffer
      - .offset:         16
        .size:           8
        .value_kind:     by_value
      - .offset:         24
        .size:           4
        .value_kind:     by_value
      - .offset:         32
        .size:           8
        .value_kind:     by_value
      - .address_space:  global
        .offset:         40
        .size:           8
        .value_kind:     global_buffer
      - .offset:         48
        .size:           8
        .value_kind:     by_value
      - .offset:         56
        .size:           4
        .value_kind:     by_value
      - .offset:         64
        .size:           8
        .value_kind:     by_value
      - .offset:         72
        .size:           4
        .value_kind:     by_value
    .group_segment_fixed_size: 0
    .kernarg_segment_align: 8
    .kernarg_segment_size: 76
    .language:       OpenCL C
    .language_version:
      - 2
      - 0
    .max_flat_workgroup_size: 256
    .name:           _ZL19rocblas_copy_kernelIiLi256EPKPdS2_EviT1_lT_lT2_lS4_li
    .private_segment_fixed_size: 0
    .sgpr_count:     18
    .sgpr_spill_count: 0
    .symbol:         _ZL19rocblas_copy_kernelIiLi256EPKPdS2_EviT1_lT_lT2_lS4_li.kd
    .uniform_work_group_size: 1
    .uses_dynamic_stack: false
    .vgpr_count:     7
    .vgpr_spill_count: 0
    .wavefront_size: 32
    .workgroup_processor_mode: 1
  - .args:
      - .offset:         0
        .size:           4
        .value_kind:     by_value
      - .offset:         4
        .size:           1
        .value_kind:     by_value
      - .offset:         5
        .size:           1
        .value_kind:     by_value
      - .offset:         8
        .size:           4
        .value_kind:     by_value
      - .offset:         12
        .size:           4
        .value_kind:     by_value
      - .address_space:  global
        .offset:         16
        .size:           8
        .value_kind:     global_buffer
      - .offset:         24
        .size:           8
        .value_kind:     by_value
      - .offset:         32
        .size:           8
        .value_kind:     by_value
      - .offset:         40
        .size:           8
        .value_kind:     by_value
      - .address_space:  global
        .offset:         48
        .size:           8
        .value_kind:     global_buffer
      - .address_space:  global
        .offset:         56
        .size:           8
        .value_kind:     global_buffer
      - .offset:         64
        .size:           8
        .value_kind:     by_value
      - .offset:         72
        .size:           8
        .value_kind:     by_value
      - .offset:         80
        .size:           8
        .value_kind:     by_value
      - .offset:         88
        .size:           4
        .value_kind:     by_value
      - .offset:         96
        .size:           4
        .value_kind:     hidden_block_count_x
      - .offset:         100
        .size:           4
        .value_kind:     hidden_block_count_y
      - .offset:         104
        .size:           4
        .value_kind:     hidden_block_count_z
      - .offset:         108
        .size:           2
        .value_kind:     hidden_group_size_x
      - .offset:         110
        .size:           2
        .value_kind:     hidden_group_size_y
      - .offset:         112
        .size:           2
        .value_kind:     hidden_group_size_z
      - .offset:         114
        .size:           2
        .value_kind:     hidden_remainder_x
      - .offset:         116
        .size:           2
        .value_kind:     hidden_remainder_y
      - .offset:         118
        .size:           2
        .value_kind:     hidden_remainder_z
      - .offset:         136
        .size:           8
        .value_kind:     hidden_global_offset_x
      - .offset:         144
        .size:           8
        .value_kind:     hidden_global_offset_y
      - .offset:         152
        .size:           8
        .value_kind:     hidden_global_offset_z
      - .offset:         160
        .size:           2
        .value_kind:     hidden_grid_dims
    .group_segment_fixed_size: 8192
    .kernarg_segment_align: 8
    .kernarg_segment_size: 352
    .language:       OpenCL C
    .language_version:
      - 2
      - 0
    .max_flat_workgroup_size: 1024
    .name:           _ZL20rocblas_tbmvx_kernelILi64ELi16EPKPKdPKPdEv18rocblas_operation_bbiiT1_lllS8_T2_llli
    .private_segment_fixed_size: 0
    .sgpr_count:     30
    .sgpr_spill_count: 0
    .symbol:         _ZL20rocblas_tbmvx_kernelILi64ELi16EPKPKdPKPdEv18rocblas_operation_bbiiT1_lllS8_T2_llli.kd
    .uniform_work_group_size: 1
    .uses_dynamic_stack: false
    .vgpr_count:     19
    .vgpr_spill_count: 0
    .wavefront_size: 32
    .workgroup_processor_mode: 1
  - .args:
      - .offset:         0
        .size:           4
        .value_kind:     by_value
      - .address_space:  global
        .offset:         8
        .size:           8
        .value_kind:     global_buffer
      - .offset:         16
        .size:           8
        .value_kind:     by_value
      - .offset:         24
        .size:           8
        .value_kind:     by_value
      - .offset:         32
        .size:           8
        .value_kind:     by_value
      - .address_space:  global
        .offset:         40
        .size:           8
        .value_kind:     global_buffer
      - .offset:         48
        .size:           8
        .value_kind:     by_value
      - .offset:         56
        .size:           8
        .value_kind:     by_value
      - .offset:         64
        .size:           8
        .value_kind:     by_value
      - .offset:         72
        .size:           4
        .value_kind:     by_value
    .group_segment_fixed_size: 0
    .kernarg_segment_align: 8
    .kernarg_segment_size: 76
    .language:       OpenCL C
    .language_version:
      - 2
      - 0
    .max_flat_workgroup_size: 256
    .name:           _ZL19rocblas_copy_kernelIlLi256EPKP19rocblas_complex_numIfES4_EviT1_lT_lT2_lS6_li
    .private_segment_fixed_size: 0
    .sgpr_count:     18
    .sgpr_spill_count: 0
    .symbol:         _ZL19rocblas_copy_kernelIlLi256EPKP19rocblas_complex_numIfES4_EviT1_lT_lT2_lS6_li.kd
    .uniform_work_group_size: 1
    .uses_dynamic_stack: false
    .vgpr_count:     7
    .vgpr_spill_count: 0
    .wavefront_size: 32
    .workgroup_processor_mode: 1
  - .args:
      - .offset:         0
        .size:           4
        .value_kind:     by_value
      - .address_space:  global
        .offset:         8
        .size:           8
        .value_kind:     global_buffer
      - .offset:         16
        .size:           8
        .value_kind:     by_value
      - .offset:         24
        .size:           4
        .value_kind:     by_value
      - .offset:         32
        .size:           8
        .value_kind:     by_value
      - .address_space:  global
        .offset:         40
        .size:           8
        .value_kind:     global_buffer
      - .offset:         48
        .size:           8
        .value_kind:     by_value
      - .offset:         56
        .size:           4
        .value_kind:     by_value
      - .offset:         64
        .size:           8
        .value_kind:     by_value
      - .offset:         72
        .size:           4
        .value_kind:     by_value
    .group_segment_fixed_size: 0
    .kernarg_segment_align: 8
    .kernarg_segment_size: 76
    .language:       OpenCL C
    .language_version:
      - 2
      - 0
    .max_flat_workgroup_size: 256
    .name:           _ZL19rocblas_copy_kernelIiLi256EPKP19rocblas_complex_numIfES4_EviT1_lT_lT2_lS6_li
    .private_segment_fixed_size: 0
    .sgpr_count:     18
    .sgpr_spill_count: 0
    .symbol:         _ZL19rocblas_copy_kernelIiLi256EPKP19rocblas_complex_numIfES4_EviT1_lT_lT2_lS6_li.kd
    .uniform_work_group_size: 1
    .uses_dynamic_stack: false
    .vgpr_count:     7
    .vgpr_spill_count: 0
    .wavefront_size: 32
    .workgroup_processor_mode: 1
  - .args:
      - .offset:         0
        .size:           4
        .value_kind:     by_value
      - .offset:         4
        .size:           1
        .value_kind:     by_value
      - .offset:         5
        .size:           1
        .value_kind:     by_value
      - .offset:         8
        .size:           4
        .value_kind:     by_value
      - .offset:         12
        .size:           4
        .value_kind:     by_value
      - .address_space:  global
        .offset:         16
        .size:           8
        .value_kind:     global_buffer
      - .offset:         24
        .size:           8
        .value_kind:     by_value
      - .offset:         32
        .size:           8
        .value_kind:     by_value
      - .offset:         40
        .size:           8
        .value_kind:     by_value
      - .address_space:  global
        .offset:         48
        .size:           8
        .value_kind:     global_buffer
      - .address_space:  global
        .offset:         56
        .size:           8
        .value_kind:     global_buffer
      - .offset:         64
        .size:           8
        .value_kind:     by_value
      - .offset:         72
        .size:           8
        .value_kind:     by_value
      - .offset:         80
        .size:           8
        .value_kind:     by_value
      - .offset:         88
        .size:           4
        .value_kind:     by_value
      - .offset:         96
        .size:           4
        .value_kind:     hidden_block_count_x
      - .offset:         100
        .size:           4
        .value_kind:     hidden_block_count_y
      - .offset:         104
        .size:           4
        .value_kind:     hidden_block_count_z
      - .offset:         108
        .size:           2
        .value_kind:     hidden_group_size_x
      - .offset:         110
        .size:           2
        .value_kind:     hidden_group_size_y
      - .offset:         112
        .size:           2
        .value_kind:     hidden_group_size_z
      - .offset:         114
        .size:           2
        .value_kind:     hidden_remainder_x
      - .offset:         116
        .size:           2
        .value_kind:     hidden_remainder_y
      - .offset:         118
        .size:           2
        .value_kind:     hidden_remainder_z
      - .offset:         136
        .size:           8
        .value_kind:     hidden_global_offset_x
      - .offset:         144
        .size:           8
        .value_kind:     hidden_global_offset_y
      - .offset:         152
        .size:           8
        .value_kind:     hidden_global_offset_z
      - .offset:         160
        .size:           2
        .value_kind:     hidden_grid_dims
    .group_segment_fixed_size: 8192
    .kernarg_segment_align: 8
    .kernarg_segment_size: 352
    .language:       OpenCL C
    .language_version:
      - 2
      - 0
    .max_flat_workgroup_size: 1024
    .name:           _ZL20rocblas_tbmvx_kernelILi64ELi16EPKPK19rocblas_complex_numIfEPKPS1_Ev18rocblas_operation_bbiiT1_lllSA_T2_llli
    .private_segment_fixed_size: 0
    .sgpr_count:     31
    .sgpr_spill_count: 0
    .symbol:         _ZL20rocblas_tbmvx_kernelILi64ELi16EPKPK19rocblas_complex_numIfEPKPS1_Ev18rocblas_operation_bbiiT1_lllSA_T2_llli.kd
    .uniform_work_group_size: 1
    .uses_dynamic_stack: false
    .vgpr_count:     19
    .vgpr_spill_count: 0
    .wavefront_size: 32
    .workgroup_processor_mode: 1
  - .args:
      - .offset:         0
        .size:           4
        .value_kind:     by_value
      - .address_space:  global
        .offset:         8
        .size:           8
        .value_kind:     global_buffer
      - .offset:         16
        .size:           8
        .value_kind:     by_value
      - .offset:         24
        .size:           8
        .value_kind:     by_value
      - .offset:         32
        .size:           8
        .value_kind:     by_value
      - .address_space:  global
        .offset:         40
        .size:           8
        .value_kind:     global_buffer
      - .offset:         48
        .size:           8
        .value_kind:     by_value
      - .offset:         56
        .size:           8
        .value_kind:     by_value
      - .offset:         64
        .size:           8
        .value_kind:     by_value
      - .offset:         72
        .size:           4
        .value_kind:     by_value
    .group_segment_fixed_size: 0
    .kernarg_segment_align: 8
    .kernarg_segment_size: 76
    .language:       OpenCL C
    .language_version:
      - 2
      - 0
    .max_flat_workgroup_size: 256
    .name:           _ZL19rocblas_copy_kernelIlLi256EPKP19rocblas_complex_numIdES4_EviT1_lT_lT2_lS6_li
    .private_segment_fixed_size: 0
    .sgpr_count:     18
    .sgpr_spill_count: 0
    .symbol:         _ZL19rocblas_copy_kernelIlLi256EPKP19rocblas_complex_numIdES4_EviT1_lT_lT2_lS6_li.kd
    .uniform_work_group_size: 1
    .uses_dynamic_stack: false
    .vgpr_count:     9
    .vgpr_spill_count: 0
    .wavefront_size: 32
    .workgroup_processor_mode: 1
  - .args:
      - .offset:         0
        .size:           4
        .value_kind:     by_value
      - .address_space:  global
        .offset:         8
        .size:           8
        .value_kind:     global_buffer
      - .offset:         16
        .size:           8
        .value_kind:     by_value
      - .offset:         24
        .size:           4
        .value_kind:     by_value
      - .offset:         32
        .size:           8
        .value_kind:     by_value
      - .address_space:  global
        .offset:         40
        .size:           8
        .value_kind:     global_buffer
      - .offset:         48
        .size:           8
        .value_kind:     by_value
      - .offset:         56
        .size:           4
        .value_kind:     by_value
      - .offset:         64
        .size:           8
        .value_kind:     by_value
      - .offset:         72
        .size:           4
        .value_kind:     by_value
    .group_segment_fixed_size: 0
    .kernarg_segment_align: 8
    .kernarg_segment_size: 76
    .language:       OpenCL C
    .language_version:
      - 2
      - 0
    .max_flat_workgroup_size: 256
    .name:           _ZL19rocblas_copy_kernelIiLi256EPKP19rocblas_complex_numIdES4_EviT1_lT_lT2_lS6_li
    .private_segment_fixed_size: 0
    .sgpr_count:     18
    .sgpr_spill_count: 0
    .symbol:         _ZL19rocblas_copy_kernelIiLi256EPKP19rocblas_complex_numIdES4_EviT1_lT_lT2_lS6_li.kd
    .uniform_work_group_size: 1
    .uses_dynamic_stack: false
    .vgpr_count:     9
    .vgpr_spill_count: 0
    .wavefront_size: 32
    .workgroup_processor_mode: 1
  - .args:
      - .offset:         0
        .size:           4
        .value_kind:     by_value
      - .offset:         4
        .size:           1
        .value_kind:     by_value
      - .offset:         5
        .size:           1
        .value_kind:     by_value
      - .offset:         8
        .size:           4
        .value_kind:     by_value
      - .offset:         12
        .size:           4
        .value_kind:     by_value
      - .address_space:  global
        .offset:         16
        .size:           8
        .value_kind:     global_buffer
      - .offset:         24
        .size:           8
        .value_kind:     by_value
      - .offset:         32
        .size:           8
        .value_kind:     by_value
      - .offset:         40
        .size:           8
        .value_kind:     by_value
      - .address_space:  global
        .offset:         48
        .size:           8
        .value_kind:     global_buffer
      - .address_space:  global
        .offset:         56
        .size:           8
        .value_kind:     global_buffer
      - .offset:         64
        .size:           8
        .value_kind:     by_value
      - .offset:         72
        .size:           8
        .value_kind:     by_value
      - .offset:         80
        .size:           8
        .value_kind:     by_value
      - .offset:         88
        .size:           4
        .value_kind:     by_value
      - .offset:         96
        .size:           4
        .value_kind:     hidden_block_count_x
      - .offset:         100
        .size:           4
        .value_kind:     hidden_block_count_y
      - .offset:         104
        .size:           4
        .value_kind:     hidden_block_count_z
      - .offset:         108
        .size:           2
        .value_kind:     hidden_group_size_x
      - .offset:         110
        .size:           2
        .value_kind:     hidden_group_size_y
      - .offset:         112
        .size:           2
        .value_kind:     hidden_group_size_z
      - .offset:         114
        .size:           2
        .value_kind:     hidden_remainder_x
      - .offset:         116
        .size:           2
        .value_kind:     hidden_remainder_y
      - .offset:         118
        .size:           2
        .value_kind:     hidden_remainder_z
      - .offset:         136
        .size:           8
        .value_kind:     hidden_global_offset_x
      - .offset:         144
        .size:           8
        .value_kind:     hidden_global_offset_y
      - .offset:         152
        .size:           8
        .value_kind:     hidden_global_offset_z
      - .offset:         160
        .size:           2
        .value_kind:     hidden_grid_dims
    .group_segment_fixed_size: 16384
    .kernarg_segment_align: 8
    .kernarg_segment_size: 352
    .language:       OpenCL C
    .language_version:
      - 2
      - 0
    .max_flat_workgroup_size: 1024
    .name:           _ZL20rocblas_tbmvx_kernelILi64ELi16EPKPK19rocblas_complex_numIdEPKPS1_Ev18rocblas_operation_bbiiT1_lllSA_T2_llli
    .private_segment_fixed_size: 0
    .sgpr_count:     30
    .sgpr_spill_count: 0
    .symbol:         _ZL20rocblas_tbmvx_kernelILi64ELi16EPKPK19rocblas_complex_numIdEPKPS1_Ev18rocblas_operation_bbiiT1_lllSA_T2_llli.kd
    .uniform_work_group_size: 1
    .uses_dynamic_stack: false
    .vgpr_count:     27
    .vgpr_spill_count: 0
    .wavefront_size: 32
    .workgroup_processor_mode: 1
amdhsa.target:   amdgcn-amd-amdhsa--gfx1100
amdhsa.version:
  - 1
  - 2
...

	.end_amdgpu_metadata
